;; amdgpu-corpus repo=ROCm/rocFFT kind=compiled arch=gfx1030 opt=O3
	.text
	.amdgcn_target "amdgcn-amd-amdhsa--gfx1030"
	.amdhsa_code_object_version 6
	.protected	fft_rtc_fwd_len325_factors_13_5_5_wgs_52_tpt_13_dp_ip_CI_sbrr_dirReg ; -- Begin function fft_rtc_fwd_len325_factors_13_5_5_wgs_52_tpt_13_dp_ip_CI_sbrr_dirReg
	.globl	fft_rtc_fwd_len325_factors_13_5_5_wgs_52_tpt_13_dp_ip_CI_sbrr_dirReg
	.p2align	8
	.type	fft_rtc_fwd_len325_factors_13_5_5_wgs_52_tpt_13_dp_ip_CI_sbrr_dirReg,@function
fft_rtc_fwd_len325_factors_13_5_5_wgs_52_tpt_13_dp_ip_CI_sbrr_dirReg: ; @fft_rtc_fwd_len325_factors_13_5_5_wgs_52_tpt_13_dp_ip_CI_sbrr_dirReg
; %bb.0:
	s_clause 0x2
	s_load_dwordx2 s[14:15], s[4:5], 0x18
	s_load_dwordx4 s[8:11], s[4:5], 0x0
	s_load_dwordx2 s[12:13], s[4:5], 0x50
	v_mul_u32_u24_e32 v1, 0x13b2, v0
	v_mov_b32_e32 v3, 0
	v_lshrrev_b32_e32 v9, 16, v1
	v_mov_b32_e32 v1, 0
	v_mov_b32_e32 v6, v3
	v_mov_b32_e32 v2, 0
	v_lshl_add_u32 v5, s6, 2, v9
	s_waitcnt lgkmcnt(0)
	s_load_dwordx2 s[2:3], s[14:15], 0x0
	v_cmp_lt_u64_e64 s0, s[10:11], 2
	s_and_b32 vcc_lo, exec_lo, s0
	s_cbranch_vccnz .LBB0_8
; %bb.1:
	s_load_dwordx2 s[0:1], s[4:5], 0x10
	v_mov_b32_e32 v1, 0
	s_add_u32 s6, s14, 8
	v_mov_b32_e32 v2, 0
	s_addc_u32 s7, s15, 0
	s_mov_b64 s[18:19], 1
	s_waitcnt lgkmcnt(0)
	s_add_u32 s16, s0, 8
	s_addc_u32 s17, s1, 0
.LBB0_2:                                ; =>This Inner Loop Header: Depth=1
	s_load_dwordx2 s[20:21], s[16:17], 0x0
                                        ; implicit-def: $vgpr7_vgpr8
	s_mov_b32 s0, exec_lo
	s_waitcnt lgkmcnt(0)
	v_or_b32_e32 v4, s21, v6
	v_cmpx_ne_u64_e32 0, v[3:4]
	s_xor_b32 s1, exec_lo, s0
	s_cbranch_execz .LBB0_4
; %bb.3:                                ;   in Loop: Header=BB0_2 Depth=1
	v_cvt_f32_u32_e32 v4, s20
	v_cvt_f32_u32_e32 v7, s21
	s_sub_u32 s0, 0, s20
	s_subb_u32 s22, 0, s21
	v_fmac_f32_e32 v4, 0x4f800000, v7
	v_rcp_f32_e32 v4, v4
	v_mul_f32_e32 v4, 0x5f7ffffc, v4
	v_mul_f32_e32 v7, 0x2f800000, v4
	v_trunc_f32_e32 v7, v7
	v_fmac_f32_e32 v4, 0xcf800000, v7
	v_cvt_u32_f32_e32 v7, v7
	v_cvt_u32_f32_e32 v4, v4
	v_mul_lo_u32 v8, s0, v7
	v_mul_hi_u32 v10, s0, v4
	v_mul_lo_u32 v11, s22, v4
	v_add_nc_u32_e32 v8, v10, v8
	v_mul_lo_u32 v10, s0, v4
	v_add_nc_u32_e32 v8, v8, v11
	v_mul_hi_u32 v11, v4, v10
	v_mul_lo_u32 v12, v4, v8
	v_mul_hi_u32 v13, v4, v8
	v_mul_hi_u32 v14, v7, v10
	v_mul_lo_u32 v10, v7, v10
	v_mul_hi_u32 v15, v7, v8
	v_mul_lo_u32 v8, v7, v8
	v_add_co_u32 v11, vcc_lo, v11, v12
	v_add_co_ci_u32_e32 v12, vcc_lo, 0, v13, vcc_lo
	v_add_co_u32 v10, vcc_lo, v11, v10
	v_add_co_ci_u32_e32 v10, vcc_lo, v12, v14, vcc_lo
	v_add_co_ci_u32_e32 v11, vcc_lo, 0, v15, vcc_lo
	v_add_co_u32 v8, vcc_lo, v10, v8
	v_add_co_ci_u32_e32 v10, vcc_lo, 0, v11, vcc_lo
	v_add_co_u32 v4, vcc_lo, v4, v8
	v_add_co_ci_u32_e32 v7, vcc_lo, v7, v10, vcc_lo
	v_mul_hi_u32 v8, s0, v4
	v_mul_lo_u32 v11, s22, v4
	v_mul_lo_u32 v10, s0, v7
	v_add_nc_u32_e32 v8, v8, v10
	v_mul_lo_u32 v10, s0, v4
	v_add_nc_u32_e32 v8, v8, v11
	v_mul_hi_u32 v11, v4, v10
	v_mul_lo_u32 v12, v4, v8
	v_mul_hi_u32 v13, v4, v8
	v_mul_hi_u32 v14, v7, v10
	v_mul_lo_u32 v10, v7, v10
	v_mul_hi_u32 v15, v7, v8
	v_mul_lo_u32 v8, v7, v8
	v_add_co_u32 v11, vcc_lo, v11, v12
	v_add_co_ci_u32_e32 v12, vcc_lo, 0, v13, vcc_lo
	v_add_co_u32 v10, vcc_lo, v11, v10
	v_add_co_ci_u32_e32 v10, vcc_lo, v12, v14, vcc_lo
	v_add_co_ci_u32_e32 v11, vcc_lo, 0, v15, vcc_lo
	v_add_co_u32 v8, vcc_lo, v10, v8
	v_add_co_ci_u32_e32 v10, vcc_lo, 0, v11, vcc_lo
	v_add_co_u32 v4, vcc_lo, v4, v8
	v_add_co_ci_u32_e32 v12, vcc_lo, v7, v10, vcc_lo
	v_mul_hi_u32 v14, v5, v4
	v_mad_u64_u32 v[10:11], null, v6, v4, 0
	v_mad_u64_u32 v[7:8], null, v5, v12, 0
	;; [unrolled: 1-line block ×3, first 2 shown]
	v_add_co_u32 v4, vcc_lo, v14, v7
	v_add_co_ci_u32_e32 v7, vcc_lo, 0, v8, vcc_lo
	v_add_co_u32 v4, vcc_lo, v4, v10
	v_add_co_ci_u32_e32 v4, vcc_lo, v7, v11, vcc_lo
	v_add_co_ci_u32_e32 v7, vcc_lo, 0, v13, vcc_lo
	v_add_co_u32 v4, vcc_lo, v4, v12
	v_add_co_ci_u32_e32 v10, vcc_lo, 0, v7, vcc_lo
	v_mul_lo_u32 v11, s21, v4
	v_mad_u64_u32 v[7:8], null, s20, v4, 0
	v_mul_lo_u32 v12, s20, v10
	v_sub_co_u32 v7, vcc_lo, v5, v7
	v_add3_u32 v8, v8, v12, v11
	v_sub_nc_u32_e32 v11, v6, v8
	v_subrev_co_ci_u32_e64 v11, s0, s21, v11, vcc_lo
	v_add_co_u32 v12, s0, v4, 2
	v_add_co_ci_u32_e64 v13, s0, 0, v10, s0
	v_sub_co_u32 v14, s0, v7, s20
	v_sub_co_ci_u32_e32 v8, vcc_lo, v6, v8, vcc_lo
	v_subrev_co_ci_u32_e64 v11, s0, 0, v11, s0
	v_cmp_le_u32_e32 vcc_lo, s20, v14
	v_cmp_eq_u32_e64 s0, s21, v8
	v_cndmask_b32_e64 v14, 0, -1, vcc_lo
	v_cmp_le_u32_e32 vcc_lo, s21, v11
	v_cndmask_b32_e64 v15, 0, -1, vcc_lo
	v_cmp_le_u32_e32 vcc_lo, s20, v7
	;; [unrolled: 2-line block ×3, first 2 shown]
	v_cndmask_b32_e64 v16, 0, -1, vcc_lo
	v_cmp_eq_u32_e32 vcc_lo, s21, v11
	v_cndmask_b32_e64 v7, v16, v7, s0
	v_cndmask_b32_e32 v11, v15, v14, vcc_lo
	v_add_co_u32 v14, vcc_lo, v4, 1
	v_add_co_ci_u32_e32 v15, vcc_lo, 0, v10, vcc_lo
	v_cmp_ne_u32_e32 vcc_lo, 0, v11
	v_cndmask_b32_e32 v8, v15, v13, vcc_lo
	v_cndmask_b32_e32 v11, v14, v12, vcc_lo
	v_cmp_ne_u32_e32 vcc_lo, 0, v7
	v_cndmask_b32_e32 v8, v10, v8, vcc_lo
	v_cndmask_b32_e32 v7, v4, v11, vcc_lo
.LBB0_4:                                ;   in Loop: Header=BB0_2 Depth=1
	s_andn2_saveexec_b32 s0, s1
	s_cbranch_execz .LBB0_6
; %bb.5:                                ;   in Loop: Header=BB0_2 Depth=1
	v_cvt_f32_u32_e32 v4, s20
	s_sub_i32 s1, 0, s20
	v_rcp_iflag_f32_e32 v4, v4
	v_mul_f32_e32 v4, 0x4f7ffffe, v4
	v_cvt_u32_f32_e32 v4, v4
	v_mul_lo_u32 v7, s1, v4
	v_mul_hi_u32 v7, v4, v7
	v_add_nc_u32_e32 v4, v4, v7
	v_mul_hi_u32 v4, v5, v4
	v_mul_lo_u32 v7, v4, s20
	v_add_nc_u32_e32 v8, 1, v4
	v_sub_nc_u32_e32 v7, v5, v7
	v_subrev_nc_u32_e32 v10, s20, v7
	v_cmp_le_u32_e32 vcc_lo, s20, v7
	v_cndmask_b32_e32 v7, v7, v10, vcc_lo
	v_cndmask_b32_e32 v4, v4, v8, vcc_lo
	v_cmp_le_u32_e32 vcc_lo, s20, v7
	v_add_nc_u32_e32 v8, 1, v4
	v_cndmask_b32_e32 v7, v4, v8, vcc_lo
	v_mov_b32_e32 v8, v3
.LBB0_6:                                ;   in Loop: Header=BB0_2 Depth=1
	s_or_b32 exec_lo, exec_lo, s0
	s_load_dwordx2 s[0:1], s[6:7], 0x0
	v_mul_lo_u32 v4, v8, s20
	v_mul_lo_u32 v12, v7, s21
	v_mad_u64_u32 v[10:11], null, v7, s20, 0
	s_add_u32 s18, s18, 1
	s_addc_u32 s19, s19, 0
	s_add_u32 s6, s6, 8
	s_addc_u32 s7, s7, 0
	s_add_u32 s16, s16, 8
	s_addc_u32 s17, s17, 0
	v_add3_u32 v4, v11, v12, v4
	v_sub_co_u32 v5, vcc_lo, v5, v10
	v_sub_co_ci_u32_e32 v4, vcc_lo, v6, v4, vcc_lo
	s_waitcnt lgkmcnt(0)
	v_mul_lo_u32 v6, s1, v5
	v_mul_lo_u32 v4, s0, v4
	v_mad_u64_u32 v[1:2], null, s0, v5, v[1:2]
	v_cmp_ge_u64_e64 s0, s[18:19], s[10:11]
	s_and_b32 vcc_lo, exec_lo, s0
	v_add3_u32 v2, v6, v2, v4
	s_cbranch_vccnz .LBB0_9
; %bb.7:                                ;   in Loop: Header=BB0_2 Depth=1
	v_mov_b32_e32 v5, v7
	v_mov_b32_e32 v6, v8
	s_branch .LBB0_2
.LBB0_8:
	v_mov_b32_e32 v8, v6
	v_mov_b32_e32 v7, v5
.LBB0_9:
	s_lshl_b64 s[0:1], s[10:11], 3
	v_mul_hi_u32 v3, 0x13b13b14, v0
	s_add_u32 s0, s14, s0
	s_addc_u32 s1, s15, s1
                                        ; implicit-def: $vgpr153
	s_load_dwordx2 s[0:1], s[0:1], 0x0
	s_load_dwordx2 s[4:5], s[4:5], 0x20
	v_mul_u32_u24_e32 v3, 13, v3
	v_sub_nc_u32_e32 v149, v0, v3
	v_and_b32_e32 v0, 3, v9
	v_add_nc_u32_e32 v148, 13, v149
	s_waitcnt lgkmcnt(0)
	v_mul_lo_u32 v4, s0, v8
	v_mul_lo_u32 v5, s1, v7
	v_mad_u64_u32 v[1:2], null, s0, v7, v[1:2]
	v_cmp_gt_u64_e32 vcc_lo, s[4:5], v[7:8]
	v_cmp_le_u64_e64 s0, s[4:5], v[7:8]
	v_add3_u32 v2, v5, v2, v4
	s_and_saveexec_b32 s1, s0
	s_xor_b32 s0, exec_lo, s1
; %bb.10:
	v_add_nc_u32_e32 v153, 13, v149
; %bb.11:
	s_or_saveexec_b32 s1, s0
	v_mul_u32_u24_e32 v3, 0x145, v0
	v_lshlrev_b64 v[104:105], 4, v[1:2]
	v_lshlrev_b32_e32 v0, 4, v149
	v_add_nc_u32_e32 v150, 26, v149
	v_add_nc_u32_e32 v147, 39, v149
	v_lshlrev_b32_e32 v154, 4, v3
	v_add_nc_u32_e32 v146, 52, v149
	v_add_nc_u32_e32 v145, 0x41, v149
	;; [unrolled: 1-line block ×12, first 2 shown]
	v_or_b32_e32 v134, 0xd0, v149
	v_add_nc_u32_e32 v133, 0xdd, v149
	v_add_nc_u32_e32 v132, 0xea, v149
	;; [unrolled: 1-line block ×8, first 2 shown]
	s_xor_b32 exec_lo, exec_lo, s1
	s_cbranch_execz .LBB0_13
; %bb.12:
	v_mad_u64_u32 v[1:2], null, s2, v149, 0
	v_mad_u64_u32 v[3:4], null, s2, v148, 0
	;; [unrolled: 1-line block ×4, first 2 shown]
	v_add_co_u32 v100, s0, s12, v104
	v_mad_u64_u32 v[7:8], null, s3, v149, v[2:3]
	v_mov_b32_e32 v2, v6
	v_add_co_ci_u32_e64 v101, s0, s13, v105, s0
	v_mov_b32_e32 v6, v10
	v_mad_u64_u32 v[10:11], null, s3, v148, v[4:5]
	v_mad_u64_u32 v[11:12], null, s3, v150, v[2:3]
	v_mov_b32_e32 v2, v7
	v_mad_u64_u32 v[12:13], null, s3, v147, v[6:7]
	v_mad_u64_u32 v[17:18], null, s2, v146, 0
	v_mov_b32_e32 v4, v10
	v_lshlrev_b64 v[1:2], 4, v[1:2]
	v_mov_b32_e32 v6, v11
	v_mad_u64_u32 v[19:20], null, s2, v145, 0
	v_lshlrev_b64 v[3:4], 4, v[3:4]
	v_mov_b32_e32 v10, v12
	v_add_co_u32 v1, s0, v100, v1
	v_lshlrev_b64 v[13:14], 4, v[5:6]
	v_add_co_ci_u32_e64 v2, s0, v101, v2, s0
	v_add_co_u32 v7, s0, v100, v3
	v_lshlrev_b64 v[9:10], 4, v[9:10]
	v_add_co_ci_u32_e64 v8, s0, v101, v4, s0
	v_add_co_u32 v11, s0, v100, v13
	v_add_co_ci_u32_e64 v12, s0, v101, v14, s0
	v_add_co_u32 v13, s0, v100, v9
	v_add_co_ci_u32_e64 v14, s0, v101, v10, s0
	v_mov_b32_e32 v9, v18
	v_mov_b32_e32 v10, v20
	v_mad_u64_u32 v[21:22], null, s2, v144, 0
	v_mad_u64_u32 v[23:24], null, s2, v142, 0
	;; [unrolled: 1-line block ×5, first 2 shown]
	v_mov_b32_e32 v15, v22
	v_mov_b32_e32 v9, v24
	v_mad_u64_u32 v[49:50], null, s2, v138, 0
	v_mad_u64_u32 v[51:52], null, s2, v137, 0
	v_mov_b32_e32 v10, v28
	v_mad_u64_u32 v[33:34], null, s3, v144, v[15:16]
	v_mad_u64_u32 v[29:30], null, s2, v141, 0
	;; [unrolled: 1-line block ×5, first 2 shown]
	v_mov_b32_e32 v18, v25
	v_mad_u64_u32 v[53:54], null, s2, v135, 0
	v_mov_b32_e32 v20, v26
	v_mov_b32_e32 v28, v35
	v_mad_u64_u32 v[55:56], null, s2, v136, 0
	v_mad_u64_u32 v[57:58], null, s2, v134, 0
	v_lshlrev_b64 v[17:18], 4, v[17:18]
	v_mad_u64_u32 v[59:60], null, s2, v133, 0
	v_mad_u64_u32 v[61:62], null, s2, v132, 0
	;; [unrolled: 1-line block ×3, first 2 shown]
	v_mov_b32_e32 v9, v30
	v_mov_b32_e32 v22, v33
	;; [unrolled: 1-line block ×3, first 2 shown]
	v_lshlrev_b64 v[25:26], 4, v[27:28]
	v_mad_u64_u32 v[27:28], null, s2, v140, 0
	v_lshlrev_b64 v[19:20], 4, v[19:20]
	v_mov_b32_e32 v24, v34
	v_mad_u64_u32 v[64:65], null, s3, v137, v[52:53]
	v_mad_u64_u32 v[36:37], null, s3, v141, v[9:10]
	v_lshlrev_b64 v[21:22], 4, v[21:22]
	v_add_co_u32 v17, s0, v100, v17
	v_mad_u64_u32 v[37:38], null, s3, v139, v[15:16]
	v_mad_u64_u32 v[65:66], null, s3, v135, v[54:55]
	;; [unrolled: 1-line block ×3, first 2 shown]
	v_add_co_ci_u32_e64 v18, s0, v101, v18, s0
	v_mad_u64_u32 v[66:67], null, s2, v131, 0
	v_mov_b32_e32 v50, v63
	v_mov_b32_e32 v56, v60
	;; [unrolled: 1-line block ×3, first 2 shown]
	v_mad_u64_u32 v[62:63], null, s3, v134, v[58:59]
	v_lshlrev_b64 v[23:24], 4, v[23:24]
	v_add_co_u32 v33, s0, v100, v19
	v_mov_b32_e32 v19, v28
	v_add_co_ci_u32_e64 v34, s0, v101, v20, s0
	v_add_co_u32 v35, s0, v100, v21
	v_mov_b32_e32 v52, v64
	v_mad_u64_u32 v[63:64], null, s3, v133, v[56:57]
	v_mov_b32_e32 v30, v36
	v_add_co_ci_u32_e64 v36, s0, v101, v22, s0
	v_mov_b32_e32 v32, v37
	v_add_co_u32 v37, s0, v100, v23
	v_mad_u64_u32 v[39:40], null, s3, v140, v[19:20]
	v_mov_b32_e32 v56, v68
	v_mad_u64_u32 v[68:69], null, s3, v132, v[60:61]
	v_mov_b32_e32 v54, v65
	;; [unrolled: 2-line block ×3, first 2 shown]
	v_mov_b32_e32 v62, v67
	v_mad_u64_u32 v[69:70], null, s2, v129, 0
	v_add_co_ci_u32_e64 v38, s0, v101, v24, s0
	v_add_co_u32 v40, s0, v100, v25
	v_add_co_ci_u32_e64 v41, s0, v101, v26, s0
	v_lshlrev_b64 v[25:26], 4, v[29:30]
	v_mad_u64_u32 v[71:72], null, s3, v131, v[62:63]
	v_mad_u64_u32 v[72:73], null, s2, v128, 0
	;; [unrolled: 1-line block ×3, first 2 shown]
	v_mov_b32_e32 v28, v39
	v_mov_b32_e32 v60, v63
	;; [unrolled: 1-line block ×4, first 2 shown]
	v_lshlrev_b64 v[29:30], 4, v[31:32]
	v_add_co_u32 v42, s0, v100, v25
	v_mad_u64_u32 v[76:77], null, s2, v126, 0
	v_add_co_ci_u32_e64 v43, s0, v101, v26, s0
	v_lshlrev_b64 v[25:26], 4, v[27:28]
	v_mad_u64_u32 v[78:79], null, s3, v130, v[62:63]
	v_mov_b32_e32 v62, v73
	v_mad_u64_u32 v[79:80], null, s3, v129, v[63:64]
	v_mov_b32_e32 v63, v75
	v_add_co_u32 v44, s0, v100, v29
	v_lshlrev_b64 v[49:50], 4, v[49:50]
	v_add_co_ci_u32_e64 v45, s0, v101, v30, s0
	v_add_co_u32 v46, s0, v100, v25
	v_lshlrev_b64 v[51:52], 4, v[51:52]
	v_mov_b32_e32 v65, v77
	v_mad_u64_u32 v[80:81], null, s3, v128, v[62:63]
	v_add_co_ci_u32_e64 v47, s0, v101, v26, s0
	v_mad_u64_u32 v[81:82], null, s3, v127, v[63:64]
	v_add_co_u32 v49, s0, v100, v49
	v_lshlrev_b64 v[53:54], 4, v[53:54]
	v_add_co_ci_u32_e64 v50, s0, v101, v50, s0
	v_mad_u64_u32 v[82:83], null, s3, v126, v[65:66]
	v_mov_b32_e32 v65, v78
	v_add_co_u32 v78, s0, v100, v51
	v_mov_b32_e32 v70, v79
	v_add_co_ci_u32_e64 v79, s0, v101, v52, s0
	v_lshlrev_b64 v[51:52], 4, v[55:56]
	v_mov_b32_e32 v73, v80
	v_add_co_u32 v80, s0, v100, v53
	v_mov_b32_e32 v75, v81
	v_add_co_ci_u32_e64 v81, s0, v101, v54, s0
	v_lshlrev_b64 v[53:54], 4, v[57:58]
	v_mov_b32_e32 v62, v68
	v_mov_b32_e32 v77, v82
	v_add_co_u32 v82, s0, v100, v51
	v_add_co_ci_u32_e64 v83, s0, v101, v52, s0
	v_lshlrev_b64 v[51:52], 4, v[59:60]
	v_add_co_u32 v84, s0, v100, v53
	v_mov_b32_e32 v67, v71
	v_add_co_ci_u32_e64 v85, s0, v101, v54, s0
	v_lshlrev_b64 v[53:54], 4, v[61:62]
	v_add_co_u32 v86, s0, v100, v51
	v_add_co_ci_u32_e64 v87, s0, v101, v52, s0
	v_lshlrev_b64 v[51:52], 4, v[66:67]
	v_add_co_u32 v88, s0, v100, v53
	;; [unrolled: 3-line block ×7, first 2 shown]
	v_add_co_ci_u32_e64 v99, s0, v101, v52, s0
	s_clause 0x1
	global_load_dwordx4 v[1:4], v[1:2], off
	global_load_dwordx4 v[5:8], v[7:8], off
	v_add_co_u32 v100, s0, v100, v53
	s_clause 0x9
	global_load_dwordx4 v[9:12], v[11:12], off
	global_load_dwordx4 v[13:16], v[13:14], off
	;; [unrolled: 1-line block ×10, first 2 shown]
	v_add_co_ci_u32_e64 v101, s0, v101, v54, s0
	s_clause 0xc
	global_load_dwordx4 v[49:52], v[49:50], off
	global_load_dwordx4 v[53:56], v[78:79], off
	;; [unrolled: 1-line block ×13, first 2 shown]
	v_add3_u32 v101, 0, v154, v0
	v_mov_b32_e32 v153, v148
	s_waitcnt vmcnt(24)
	ds_write_b128 v101, v[1:4]
	s_waitcnt vmcnt(23)
	ds_write_b128 v101, v[5:8] offset:208
	s_waitcnt vmcnt(22)
	ds_write_b128 v101, v[9:12] offset:416
	;; [unrolled: 2-line block ×24, first 2 shown]
.LBB0_13:
	s_or_b32 exec_lo, exec_lo, s1
	v_add_nc_u32_e32 v1, 0, v0
	v_add_nc_u32_e32 v155, 0, v154
	s_waitcnt lgkmcnt(0)
	s_barrier
	buffer_gl0_inv
	v_add_nc_u32_e32 v152, v1, v154
	v_add_nc_u32_e32 v151, v155, v0
	s_mov_b32 s4, 0x4267c47c
	s_mov_b32 s5, 0xbfddbe06
	;; [unrolled: 1-line block ×3, first 2 shown]
	ds_read_b128 v[0:3], v152 offset:400
	ds_read_b128 v[20:23], v151
	ds_read_b128 v[8:11], v152 offset:800
	ds_read_b128 v[40:43], v152 offset:1200
	;; [unrolled: 1-line block ×10, first 2 shown]
	s_mov_b32 s6, 0xe00740e9
	s_mov_b32 s41, 0xbfea55e2
	;; [unrolled: 1-line block ×10, first 2 shown]
	s_waitcnt lgkmcnt(10)
	v_add_f64 v[4:5], v[20:21], v[0:1]
	v_add_f64 v[6:7], v[22:23], v[2:3]
	s_mov_b32 s23, 0x3fbedb7d
	s_mov_b32 s16, 0x24c2f84
	s_waitcnt lgkmcnt(5)
	v_add_f64 v[74:75], v[2:3], -v[26:27]
	v_add_f64 v[72:73], v[0:1], -v[24:25]
	v_add_f64 v[66:67], v[0:1], v[24:25]
	s_waitcnt lgkmcnt(2)
	v_add_f64 v[60:61], v[8:9], -v[28:29]
	v_add_f64 v[62:63], v[10:11], -v[30:31]
	v_add_f64 v[64:65], v[2:3], v[26:27]
	;; [unrolled: 4-line block ×3, first 2 shown]
	v_add_f64 v[90:91], v[10:11], v[30:31]
	v_add_f64 v[80:81], v[48:49], v[52:53]
	;; [unrolled: 1-line block ×3, first 2 shown]
	v_add_f64 v[84:85], v[48:49], -v[52:53]
	v_add_f64 v[86:87], v[50:51], -v[54:55]
	v_add_f64 v[108:109], v[40:41], v[36:37]
	v_add_f64 v[106:107], v[42:43], v[38:39]
	s_mov_b32 s14, 0x4bc48dbf
	s_mov_b32 s28, 0xb2365da1
	v_add_f64 v[4:5], v[4:5], v[8:9]
	v_add_f64 v[6:7], v[6:7], v[10:11]
	s_mov_b32 s17, 0xbfe5384d
	s_mov_b32 s15, 0xbfcea1e5
	v_mul_f64 v[70:71], v[74:75], s[4:5]
	v_mul_f64 v[68:69], v[72:73], s[4:5]
	s_mov_b32 s29, 0xbfd6b1d8
	v_mul_f64 v[92:93], v[60:61], s[40:41]
	v_mul_f64 v[98:99], v[62:63], s[40:41]
	;; [unrolled: 1-line block ×12, first 2 shown]
	s_mov_b32 s20, 0xd0032e0c
	s_mov_b32 s10, 0x93053d00
	;; [unrolled: 1-line block ×3, first 2 shown]
	v_add_f64 v[4:5], v[4:5], v[40:41]
	v_add_f64 v[6:7], v[6:7], v[42:43]
	s_mov_b32 s11, 0xbfef11f4
	v_mul_f64 v[172:173], v[100:101], s[14:15]
	v_fma_f64 v[88:89], v[66:67], s[6:7], -v[70:71]
	v_fma_f64 v[102:103], v[64:65], s[6:7], v[68:69]
	v_mul_f64 v[174:175], v[94:95], s[14:15]
	s_mov_b32 s25, 0x3fe5384d
	s_mov_b32 s24, s16
	v_mul_f64 v[40:41], v[86:87], s[14:15]
	v_fma_f64 v[168:169], v[106:107], s[22:23], v[110:111]
	v_fma_f64 v[166:167], v[108:109], s[22:23], -v[112:113]
	v_mul_f64 v[184:185], v[62:63], s[14:15]
	v_mul_f64 v[186:187], v[60:61], s[14:15]
	;; [unrolled: 1-line block ×3, first 2 shown]
	v_fma_f64 v[70:71], v[66:67], s[6:7], v[70:71]
	v_fma_f64 v[196:197], v[66:67], s[22:23], -v[122:123]
	v_fma_f64 v[122:123], v[66:67], s[22:23], v[122:123]
	v_fma_f64 v[204:205], v[90:91], s[28:29], v[170:171]
	v_fma_f64 v[68:69], v[64:65], s[6:7], -v[68:69]
	v_fma_f64 v[170:171], v[90:91], s[28:29], -v[170:171]
	s_mov_b32 s31, 0x3fefc445
	v_add_f64 v[4:5], v[4:5], v[32:33]
	v_add_f64 v[6:7], v[6:7], v[34:35]
	s_mov_b32 s27, 0x3fddbe06
	s_mov_b32 s37, 0x3fedeba7
	v_add_f64 v[42:43], v[20:21], v[88:89]
	s_mov_b32 s30, s18
	s_mov_b32 s26, s4
	s_mov_b32 s36, s34
	s_mov_b32 s43, 0x3fcea1e5
	v_mul_f64 v[188:189], v[100:101], s[36:37]
	v_mul_f64 v[190:191], v[94:95], s[36:37]
	s_mov_b32 s42, s14
	v_fma_f64 v[210:211], v[96:97], s[10:11], -v[184:185]
	v_fma_f64 v[214:215], v[90:91], s[10:11], v[186:187]
	v_fma_f64 v[184:185], v[96:97], s[10:11], v[184:185]
	v_fma_f64 v[186:187], v[90:91], s[10:11], -v[186:187]
	v_add_f64 v[196:197], v[20:21], v[196:197]
	v_add_f64 v[216:217], v[20:21], v[122:123]
	s_mov_b32 s45, 0x3fea55e2
	s_mov_b32 s44, s40
	s_mov_b32 s1, exec_lo
	v_add_f64 v[4:5], v[4:5], v[44:45]
	v_add_f64 v[6:7], v[6:7], v[46:47]
	;; [unrolled: 1-line block ×5, first 2 shown]
	s_waitcnt lgkmcnt(0)
	v_add_f64 v[48:49], v[44:45], v[56:57]
	v_add_f64 v[50:51], v[46:47], v[58:59]
	;; [unrolled: 1-line block ×4, first 2 shown]
	ds_read_b128 v[0:3], v152 offset:208
	ds_read_b128 v[16:19], v152 offset:608
	;; [unrolled: 1-line block ×6, first 2 shown]
	s_waitcnt lgkmcnt(1)
	v_add_f64 v[114:115], v[32:33], -v[118:119]
	v_add_f64 v[52:53], v[76:77], v[56:57]
	v_add_f64 v[54:55], v[78:79], v[58:59]
	v_add_f64 v[76:77], v[44:45], -v[56:57]
	v_add_f64 v[78:79], v[46:47], -v[58:59]
	v_add_f64 v[44:45], v[32:33], v[118:119]
	v_fma_f64 v[32:33], v[96:97], s[38:39], -v[98:99]
	v_fma_f64 v[56:57], v[90:91], s[38:39], v[92:93]
	v_add_f64 v[58:59], v[22:23], v[102:103]
	v_add_f64 v[116:117], v[34:35], -v[120:121]
	v_add_f64 v[88:89], v[34:35], v[120:121]
	v_mul_f64 v[34:35], v[74:75], s[40:41]
	v_mul_f64 v[102:103], v[114:115], s[34:35]
	v_add_f64 v[52:53], v[52:53], v[118:119]
	v_add_f64 v[54:55], v[54:55], v[120:121]
	v_mul_f64 v[120:121], v[72:73], s[40:41]
	v_mul_f64 v[118:119], v[74:75], s[14:15]
	;; [unrolled: 1-line block ×3, first 2 shown]
	v_add_f64 v[32:33], v[32:33], v[42:43]
	v_mul_f64 v[46:47], v[78:79], s[16:17]
	v_add_f64 v[56:57], v[56:57], v[58:59]
	v_mul_f64 v[74:75], v[116:117], s[34:35]
	v_mul_f64 v[58:59], v[62:63], s[34:35]
	;; [unrolled: 1-line block ×7, first 2 shown]
	v_add_f64 v[36:37], v[52:53], v[36:37]
	v_add_f64 v[38:39], v[54:55], v[38:39]
	v_fma_f64 v[52:53], v[66:67], s[38:39], -v[34:35]
	v_fma_f64 v[54:55], v[64:65], s[38:39], v[120:121]
	v_fma_f64 v[34:35], v[66:67], s[38:39], v[34:35]
	v_add_f64 v[32:33], v[166:167], v[32:33]
	v_fma_f64 v[166:167], v[88:89], s[28:29], v[102:103]
	v_add_f64 v[56:57], v[168:169], v[56:57]
	v_fma_f64 v[194:195], v[44:45], s[28:29], -v[74:75]
	v_fma_f64 v[198:199], v[66:67], s[10:11], -v[118:119]
	;; [unrolled: 1-line block ×3, first 2 shown]
	v_fma_f64 v[208:209], v[66:67], s[10:11], v[118:119]
	v_fma_f64 v[118:119], v[50:51], s[20:21], v[72:73]
	v_fma_f64 v[120:121], v[64:65], s[38:39], -v[120:121]
	v_mul_f64 v[168:169], v[60:61], s[24:25]
	v_fma_f64 v[58:59], v[96:97], s[28:29], v[58:59]
	v_add_f64 v[28:29], v[36:37], v[28:29]
	v_add_f64 v[30:31], v[38:39], v[30:31]
	;; [unrolled: 1-line block ×4, first 2 shown]
	v_fma_f64 v[36:37], v[66:67], s[28:29], -v[124:125]
	v_fma_f64 v[38:39], v[66:67], s[28:29], v[124:125]
	v_fma_f64 v[124:125], v[66:67], s[20:21], -v[156:157]
	v_add_f64 v[56:57], v[166:167], v[56:57]
	v_fma_f64 v[156:157], v[66:67], s[20:21], v[156:157]
	v_fma_f64 v[66:67], v[48:49], s[20:21], -v[46:47]
	v_add_f64 v[32:33], v[194:195], v[32:33]
	v_fma_f64 v[166:167], v[64:65], s[22:23], v[158:159]
	v_fma_f64 v[158:159], v[64:65], s[22:23], -v[158:159]
	v_fma_f64 v[194:195], v[64:65], s[28:29], v[160:161]
	v_add_f64 v[34:35], v[20:21], v[34:35]
	v_fma_f64 v[160:161], v[64:65], s[28:29], -v[160:161]
	v_fma_f64 v[46:47], v[48:49], s[20:21], v[46:47]
	v_add_f64 v[52:53], v[28:29], v[24:25]
	v_add_f64 v[54:55], v[30:31], v[26:27]
	v_fma_f64 v[24:25], v[64:65], s[20:21], v[162:163]
	v_fma_f64 v[26:27], v[64:65], s[20:21], -v[162:163]
	v_fma_f64 v[28:29], v[64:65], s[10:11], v[164:165]
	v_fma_f64 v[30:31], v[64:65], s[10:11], -v[164:165]
	v_add_f64 v[200:201], v[200:201], v[202:203]
	v_fma_f64 v[202:203], v[108:109], s[10:11], -v[172:173]
	v_add_f64 v[204:205], v[204:205], v[206:207]
	v_fma_f64 v[206:207], v[106:107], s[10:11], v[174:175]
	v_add_f64 v[212:213], v[118:119], v[56:57]
	v_add_f64 v[56:57], v[22:23], v[120:121]
	v_fma_f64 v[162:163], v[80:81], s[10:11], -v[40:41]
	v_fma_f64 v[164:165], v[82:83], s[10:11], v[42:43]
	v_add_f64 v[32:33], v[66:67], v[32:33]
	v_add_f64 v[64:65], v[22:23], v[68:69]
	;; [unrolled: 1-line block ×9, first 2 shown]
	v_fma_f64 v[156:157], v[44:45], s[20:21], -v[176:177]
	v_add_f64 v[220:221], v[22:23], v[24:25]
	v_add_f64 v[122:123], v[22:23], v[26:27]
	;; [unrolled: 1-line block ×4, first 2 shown]
	v_mul_f64 v[24:25], v[100:101], s[26:27]
	v_mul_f64 v[26:27], v[94:95], s[26:27]
	v_add_f64 v[28:29], v[58:59], v[34:35]
	v_fma_f64 v[30:31], v[96:97], s[20:21], -v[192:193]
	v_add_f64 v[34:35], v[202:203], v[200:201]
	v_add_f64 v[198:199], v[206:207], v[204:205]
	v_fma_f64 v[200:201], v[88:89], s[20:21], v[178:179]
	v_add_f64 v[170:171], v[170:171], v[56:57]
	v_fma_f64 v[202:203], v[90:91], s[20:21], v[168:169]
	v_fma_f64 v[172:173], v[108:109], s[10:11], v[172:173]
	v_fma_f64 v[174:175], v[106:107], s[10:11], -v[174:175]
	v_add_f64 v[38:39], v[20:21], v[38:39]
	v_add_f64 v[160:161], v[22:23], v[160:161]
	v_fma_f64 v[204:205], v[108:109], s[28:29], -v[188:189]
	v_add_f64 v[56:57], v[162:163], v[32:33]
	v_add_f64 v[58:59], v[164:165], v[212:213]
	;; [unrolled: 1-line block ×3, first 2 shown]
	v_fma_f64 v[162:163], v[106:107], s[28:29], v[190:191]
	v_add_f64 v[164:165], v[184:185], v[216:217]
	v_mul_f64 v[166:167], v[116:117], s[26:27]
	v_add_f64 v[158:159], v[186:187], v[158:159]
	v_mul_f64 v[184:185], v[114:115], s[26:27]
	v_fma_f64 v[186:187], v[108:109], s[28:29], v[188:189]
	v_fma_f64 v[188:189], v[106:107], s[28:29], -v[190:191]
	v_fma_f64 v[192:193], v[96:97], s[20:21], v[192:193]
	v_add_f64 v[30:31], v[30:31], v[36:37]
	v_fma_f64 v[36:37], v[48:49], s[22:23], -v[180:181]
	v_add_f64 v[34:35], v[156:157], v[34:35]
	v_add_f64 v[190:191], v[200:201], v[198:199]
	v_fma_f64 v[200:201], v[108:109], s[6:7], -v[24:25]
	v_add_f64 v[194:195], v[202:203], v[194:195]
	v_add_f64 v[28:29], v[172:173], v[28:29]
	v_fma_f64 v[172:173], v[106:107], s[6:7], v[26:27]
	v_add_f64 v[170:171], v[174:175], v[170:171]
	v_mul_f64 v[174:175], v[114:115], s[18:19]
	v_fma_f64 v[168:169], v[90:91], s[20:21], -v[168:169]
	v_fma_f64 v[156:157], v[50:51], s[22:23], v[182:183]
	v_mul_f64 v[198:199], v[116:117], s[18:19]
	v_add_f64 v[196:197], v[204:205], v[196:197]
	v_mul_f64 v[202:203], v[78:79], s[40:41]
	v_add_f64 v[32:33], v[162:163], v[32:33]
	v_fma_f64 v[178:179], v[88:89], s[20:21], -v[178:179]
	v_mul_f64 v[162:163], v[62:63], s[30:31]
	v_mul_f64 v[62:63], v[62:63], s[26:27]
	v_add_f64 v[164:165], v[186:187], v[164:165]
	v_fma_f64 v[186:187], v[44:45], s[6:7], -v[166:167]
	v_add_f64 v[158:159], v[188:189], v[158:159]
	v_fma_f64 v[188:189], v[88:89], s[6:7], v[184:185]
	v_fma_f64 v[166:167], v[44:45], s[6:7], v[166:167]
	v_add_f64 v[204:205], v[36:37], v[34:35]
	v_mul_f64 v[34:35], v[76:77], s[40:41]
	v_fma_f64 v[184:185], v[88:89], s[6:7], -v[184:185]
	v_add_f64 v[30:31], v[200:201], v[30:31]
	v_add_f64 v[38:39], v[192:193], v[38:39]
	v_add_f64 v[172:173], v[172:173], v[194:195]
	v_fma_f64 v[192:193], v[108:109], s[6:7], v[24:25]
	v_fma_f64 v[194:195], v[88:89], s[22:23], v[174:175]
	v_add_f64 v[160:161], v[168:169], v[160:161]
	v_fma_f64 v[168:169], v[106:107], s[6:7], -v[26:27]
	v_mul_f64 v[200:201], v[76:77], s[42:43]
	v_mul_f64 v[36:37], v[60:61], s[30:31]
	v_add_f64 v[156:157], v[156:157], v[190:191]
	v_fma_f64 v[190:191], v[44:45], s[22:23], -v[198:199]
	v_add_f64 v[170:171], v[178:179], v[170:171]
	v_fma_f64 v[178:179], v[48:49], s[22:23], v[180:181]
	v_fma_f64 v[198:199], v[44:45], s[22:23], v[198:199]
	v_mul_f64 v[60:61], v[60:61], s[26:27]
	v_add_f64 v[180:181], v[186:187], v[196:197]
	v_add_f64 v[66:67], v[20:21], v[70:71]
	;; [unrolled: 1-line block ×4, first 2 shown]
	v_fma_f64 v[166:167], v[48:49], s[38:39], -v[202:203]
	v_add_f64 v[70:71], v[20:21], v[208:209]
	ds_read_b128 v[20:23], v152 offset:2208
	v_add_f64 v[158:159], v[184:185], v[158:159]
	v_fma_f64 v[184:185], v[50:51], s[38:39], v[34:35]
	v_fma_f64 v[32:33], v[96:97], s[22:23], -v[162:163]
	v_add_f64 v[38:39], v[192:193], v[38:39]
	v_add_f64 v[172:173], v[194:195], v[172:173]
	v_fma_f64 v[194:195], v[50:51], s[38:39], -v[34:35]
	v_add_f64 v[160:161], v[168:169], v[160:161]
	v_fma_f64 v[168:169], v[50:51], s[10:11], v[200:201]
	v_fma_f64 v[188:189], v[90:91], s[22:23], v[36:37]
	v_mul_f64 v[196:197], v[100:101], s[40:41]
	v_mul_f64 v[206:207], v[94:95], s[40:41]
	v_fma_f64 v[162:163], v[96:97], s[22:23], v[162:163]
	v_mul_f64 v[100:101], v[100:101], s[16:17]
	v_mul_f64 v[94:95], v[94:95], s[16:17]
	v_fma_f64 v[176:177], v[44:45], s[20:21], v[176:177]
	v_add_f64 v[30:31], v[190:191], v[30:31]
	v_fma_f64 v[190:191], v[48:49], s[38:39], v[202:203]
	v_fma_f64 v[174:175], v[88:89], s[22:23], -v[174:175]
	v_fma_f64 v[182:183], v[50:51], s[22:23], -v[182:183]
	v_add_f64 v[166:167], v[166:167], v[180:181]
	v_mul_f64 v[212:213], v[86:87], s[26:27]
	v_fma_f64 v[200:201], v[50:51], s[10:11], -v[200:201]
	v_fma_f64 v[40:41], v[80:81], s[10:11], v[40:41]
	v_add_f64 v[180:181], v[184:185], v[186:187]
	v_fma_f64 v[186:187], v[90:91], s[22:23], -v[36:37]
	v_add_f64 v[202:203], v[32:33], v[218:219]
	v_mul_f64 v[184:185], v[86:87], s[16:17]
	v_add_f64 v[158:159], v[194:195], v[158:159]
	v_add_f64 v[194:195], v[198:199], v[38:39]
	;; [unrolled: 1-line block ×3, first 2 shown]
	v_fma_f64 v[172:173], v[96:97], s[6:7], -v[62:63]
	v_fma_f64 v[198:199], v[90:91], s[6:7], v[60:61]
	v_fma_f64 v[62:63], v[96:97], s[6:7], v[62:63]
	v_fma_f64 v[60:61], v[90:91], s[6:7], -v[60:61]
	v_fma_f64 v[96:97], v[96:97], s[38:39], v[98:99]
	v_fma_f64 v[90:91], v[90:91], s[38:39], -v[92:93]
	v_fma_f64 v[208:209], v[108:109], s[38:39], -v[196:197]
	v_fma_f64 v[210:211], v[106:107], s[38:39], v[206:207]
	v_add_f64 v[124:125], v[162:163], v[124:125]
	v_mul_f64 v[92:93], v[116:117], s[42:43]
	v_fma_f64 v[196:197], v[108:109], s[38:39], v[196:197]
	v_fma_f64 v[206:207], v[106:107], s[38:39], -v[206:207]
	v_mul_f64 v[116:117], v[116:117], s[44:45]
	v_add_f64 v[188:189], v[188:189], v[220:221]
	v_add_f64 v[28:29], v[176:177], v[28:29]
	v_mul_f64 v[176:177], v[78:79], s[42:43]
	v_add_f64 v[122:123], v[186:187], v[122:123]
	v_add_f64 v[160:161], v[174:175], v[160:161]
	;; [unrolled: 1-line block ×3, first 2 shown]
	v_mul_f64 v[182:183], v[84:85], s[26:27]
	v_add_f64 v[164:165], v[190:191], v[164:165]
	v_mul_f64 v[190:191], v[84:85], s[16:17]
	v_add_f64 v[120:121], v[172:173], v[120:121]
	;; [unrolled: 2-line block ×3, first 2 shown]
	v_add_f64 v[62:63], v[62:63], v[70:71]
	v_fma_f64 v[70:71], v[108:109], s[20:21], -v[100:101]
	v_add_f64 v[60:61], v[60:61], v[68:69]
	v_fma_f64 v[68:69], v[106:107], s[20:21], v[94:95]
	v_mul_f64 v[114:115], v[114:115], s[44:45]
	v_add_f64 v[66:67], v[96:97], v[66:67]
	v_fma_f64 v[100:101], v[108:109], s[20:21], v[100:101]
	v_fma_f64 v[94:95], v[106:107], s[20:21], -v[94:95]
	v_add_f64 v[64:65], v[90:91], v[64:65]
	v_fma_f64 v[108:109], v[108:109], s[22:23], v[112:113]
	v_fma_f64 v[106:107], v[106:107], s[22:23], -v[110:111]
	v_fma_f64 v[90:91], v[44:45], s[10:11], -v[92:93]
	v_add_f64 v[124:125], v[196:197], v[124:125]
	v_mul_f64 v[196:197], v[78:79], s[26:27]
	v_add_f64 v[122:123], v[206:207], v[122:123]
	v_mul_f64 v[206:207], v[76:77], s[26:27]
	v_fma_f64 v[92:93], v[44:45], s[10:11], v[92:93]
	v_mul_f64 v[78:79], v[78:79], s[34:35]
	v_mul_f64 v[76:77], v[76:77], s[34:35]
	v_add_f64 v[174:175], v[208:209], v[202:203]
	v_add_f64 v[188:189], v[210:211], v[188:189]
	v_fma_f64 v[112:113], v[88:89], s[10:11], v[172:173]
	v_fma_f64 v[172:173], v[88:89], s[10:11], -v[172:173]
	v_add_f64 v[70:71], v[70:71], v[120:121]
	v_fma_f64 v[192:193], v[48:49], s[10:11], -v[176:177]
	v_add_f64 v[68:69], v[68:69], v[118:119]
	v_fma_f64 v[118:119], v[44:45], s[38:39], -v[116:117]
	v_fma_f64 v[120:121], v[88:89], s[38:39], v[114:115]
	v_add_f64 v[62:63], v[100:101], v[62:63]
	v_add_f64 v[60:61], v[94:95], v[60:61]
	v_fma_f64 v[94:95], v[44:45], s[38:39], v[116:117]
	v_add_f64 v[66:67], v[108:109], v[66:67]
	v_add_f64 v[64:65], v[106:107], v[64:65]
	v_fma_f64 v[44:45], v[44:45], s[28:29], v[74:75]
	v_fma_f64 v[74:75], v[88:89], s[28:29], -v[102:103]
	v_fma_f64 v[100:101], v[88:89], s[38:39], -v[114:115]
	v_mul_f64 v[96:97], v[86:87], s[44:45]
	v_mul_f64 v[110:111], v[84:85], s[44:45]
	v_fma_f64 v[176:177], v[48:49], s[10:11], v[176:177]
	v_fma_f64 v[88:89], v[48:49], s[6:7], -v[196:197]
	v_mul_f64 v[106:107], v[86:87], s[34:35]
	v_mul_f64 v[108:109], v[84:85], s[34:35]
	v_fma_f64 v[116:117], v[48:49], s[6:7], v[196:197]
	v_mul_f64 v[86:87], v[86:87], s[30:31]
	v_mul_f64 v[84:85], v[84:85], s[30:31]
	v_add_f64 v[90:91], v[90:91], v[174:175]
	v_add_f64 v[112:113], v[112:113], v[188:189]
	v_fma_f64 v[102:103], v[50:51], s[6:7], v[206:207]
	v_add_f64 v[70:71], v[118:119], v[70:71]
	v_add_f64 v[68:69], v[120:121], v[68:69]
	v_fma_f64 v[118:119], v[48:49], s[28:29], -v[78:79]
	v_fma_f64 v[120:121], v[50:51], s[28:29], v[76:77]
	v_fma_f64 v[78:79], v[48:49], s[28:29], v[78:79]
	v_fma_f64 v[48:49], v[50:51], s[20:21], -v[72:73]
	v_add_f64 v[114:115], v[172:173], v[122:123]
	v_add_f64 v[44:45], v[44:45], v[66:67]
	v_add_f64 v[64:65], v[74:75], v[64:65]
	v_fma_f64 v[122:123], v[50:51], s[6:7], -v[206:207]
	v_add_f64 v[62:63], v[94:95], v[62:63]
	v_add_f64 v[60:61], v[100:101], v[60:61]
	v_fma_f64 v[76:77], v[50:51], s[28:29], -v[76:77]
	v_add_f64 v[92:93], v[92:93], v[124:125]
	v_add_f64 v[50:51], v[176:177], v[194:195]
	v_fma_f64 v[72:73], v[80:81], s[38:39], v[96:97]
	v_fma_f64 v[42:43], v[82:83], s[10:11], -v[42:43]
	v_fma_f64 v[162:163], v[80:81], s[6:7], -v[212:213]
	v_fma_f64 v[98:99], v[82:83], s[6:7], v[182:183]
	v_fma_f64 v[186:187], v[80:81], s[20:21], -v[184:185]
	v_fma_f64 v[198:199], v[82:83], s[20:21], v[190:191]
	v_add_f64 v[192:193], v[192:193], v[30:31]
	v_fma_f64 v[94:95], v[80:81], s[38:39], -v[96:97]
	v_fma_f64 v[124:125], v[82:83], s[38:39], v[110:111]
	v_add_f64 v[70:71], v[118:119], v[70:71]
	v_add_f64 v[68:69], v[120:121], v[68:69]
	v_fma_f64 v[118:119], v[80:81], s[22:23], -v[86:87]
	v_fma_f64 v[120:121], v[82:83], s[22:23], v[84:85]
	v_add_f64 v[74:75], v[88:89], v[90:91]
	v_add_f64 v[44:45], v[46:47], v[44:45]
	;; [unrolled: 1-line block ×4, first 2 shown]
	v_fma_f64 v[88:89], v[80:81], s[28:29], -v[106:107]
	v_fma_f64 v[112:113], v[82:83], s[28:29], v[108:109]
	v_add_f64 v[66:67], v[200:201], v[160:161]
	v_add_f64 v[114:115], v[122:123], v[114:115]
	;; [unrolled: 1-line block ×4, first 2 shown]
	v_fma_f64 v[160:161], v[80:81], s[22:23], v[86:87]
	v_fma_f64 v[172:173], v[82:83], s[22:23], -v[84:85]
	v_add_f64 v[116:117], v[116:117], v[92:93]
	v_fma_f64 v[106:107], v[80:81], s[28:29], v[106:107]
	v_fma_f64 v[108:109], v[82:83], s[28:29], -v[108:109]
	v_fma_f64 v[110:111], v[82:83], s[38:39], -v[110:111]
	v_fma_f64 v[184:185], v[80:81], s[20:21], v[184:185]
	v_fma_f64 v[190:191], v[82:83], s[20:21], -v[190:191]
	v_add_f64 v[178:179], v[178:179], v[28:29]
	v_fma_f64 v[202:203], v[80:81], s[6:7], v[212:213]
	v_fma_f64 v[182:183], v[82:83], s[6:7], -v[182:183]
	ds_read_b128 v[24:27], v152 offset:2608
	ds_read_b128 v[32:35], v152 offset:3008
	ds_read_b128 v[36:39], v152 offset:3408
	ds_read_b128 v[28:31], v152 offset:3808
	v_add_f64 v[84:85], v[118:119], v[70:71]
	v_add_f64 v[86:87], v[120:121], v[68:69]
	;; [unrolled: 1-line block ×5, first 2 shown]
	ds_read_b128 v[48:51], v152 offset:4208
	ds_read_b128 v[44:47], v152 offset:4608
	;; [unrolled: 1-line block ×3, first 2 shown]
	v_add_f64 v[100:101], v[162:163], v[204:205]
	v_add_f64 v[102:103], v[98:99], v[156:157]
	;; [unrolled: 1-line block ×17, first 2 shown]
	v_mad_u32_u24 v106, 0xd0, v149, v155
	s_waitcnt lgkmcnt(0)
	s_barrier
	buffer_gl0_inv
	ds_write_b128 v106, v[52:55]
	ds_write_b128 v106, v[56:59] offset:16
	ds_write_b128 v106, v[100:103] offset:32
	ds_write_b128 v106, v[96:99] offset:48
	ds_write_b128 v106, v[92:95] offset:64
	ds_write_b128 v106, v[88:91] offset:80
	ds_write_b128 v106, v[84:87] offset:96
	ds_write_b128 v106, v[80:83] offset:112
	ds_write_b128 v106, v[76:79] offset:128
	ds_write_b128 v106, v[72:75] offset:144
	ds_write_b128 v106, v[64:67] offset:160
	ds_write_b128 v106, v[60:63] offset:176
	ds_write_b128 v106, v[68:71] offset:192
	v_cmpx_gt_u32_e32 12, v149
	s_cbranch_execz .LBB0_15
; %bb.14:
	v_add_f64 v[84:85], v[18:19], v[42:43]
	v_add_f64 v[98:99], v[18:19], -v[42:43]
	v_add_f64 v[94:95], v[14:15], v[46:47]
	v_add_f64 v[96:97], v[14:15], -v[46:47]
	v_add_f64 v[92:93], v[16:17], -v[40:41]
	v_add_f64 v[90:91], v[16:17], v[40:41]
	v_add_f64 v[82:83], v[6:7], v[50:51]
	v_add_f64 v[88:89], v[6:7], -v[50:51]
	v_add_f64 v[80:81], v[12:13], -v[44:45]
	v_add_f64 v[86:87], v[12:13], v[44:45]
	;; [unrolled: 4-line block ×4, first 2 shown]
	v_add_f64 v[18:19], v[2:3], v[18:19]
	v_add_f64 v[16:17], v[0:1], v[16:17]
	;; [unrolled: 1-line block ×3, first 2 shown]
	v_add_f64 v[56:57], v[20:21], -v[36:37]
	v_mul_f64 v[100:101], v[84:85], s[10:11]
	v_mul_f64 v[102:103], v[98:99], s[14:15]
	v_mul_f64 v[114:115], v[94:95], s[6:7]
	v_mul_f64 v[120:121], v[96:97], s[26:27]
	v_mul_f64 v[155:156], v[84:85], s[20:21]
	v_mul_f64 v[157:158], v[98:99], s[16:17]
	v_mul_f64 v[112:113], v[82:83], s[20:21]
	v_mul_f64 v[124:125], v[88:89], s[16:17]
	v_mul_f64 v[171:172], v[94:95], s[22:23]
	v_mul_f64 v[181:182], v[96:97], s[30:31]
	v_mul_f64 v[110:111], v[74:75], s[38:39]
	v_mul_f64 v[169:170], v[82:83], s[38:39]
	v_mul_f64 v[122:123], v[78:79], s[44:45]
	v_mul_f64 v[179:180], v[88:89], s[40:41]
	v_mul_f64 v[197:198], v[84:85], s[28:29]
	v_add_f64 v[62:63], v[26:27], -v[34:35]
	v_add_f64 v[60:61], v[20:21], v[36:37]
	v_mul_f64 v[108:109], v[66:67], s[28:29]
	v_mul_f64 v[118:119], v[70:71], s[34:35]
	;; [unrolled: 1-line block ×5, first 2 shown]
	v_fma_f64 v[161:162], v[92:93], s[42:43], v[100:101]
	v_fma_f64 v[163:164], v[90:91], s[10:11], v[102:103]
	v_fma_f64 v[100:101], v[92:93], s[14:15], v[100:101]
	v_fma_f64 v[102:103], v[90:91], s[10:11], -v[102:103]
	v_fma_f64 v[187:188], v[80:81], s[4:5], v[114:115]
	v_fma_f64 v[189:190], v[86:87], s[6:7], v[120:121]
	;; [unrolled: 1-line block ×3, first 2 shown]
	v_fma_f64 v[120:121], v[86:87], s[6:7], -v[120:121]
	v_fma_f64 v[191:192], v[92:93], s[24:25], v[155:156]
	v_fma_f64 v[193:194], v[90:91], s[20:21], v[157:158]
	;; [unrolled: 1-line block ×6, first 2 shown]
	v_fma_f64 v[124:125], v[76:77], s[20:21], -v[124:125]
	v_fma_f64 v[215:216], v[80:81], s[18:19], v[171:172]
	v_fma_f64 v[217:218], v[86:87], s[22:23], v[181:182]
	;; [unrolled: 1-line block ×3, first 2 shown]
	v_mul_f64 v[205:206], v[98:99], s[34:35]
	v_add_f64 v[219:220], v[18:19], v[14:15]
	v_add_f64 v[221:222], v[16:17], v[12:13]
	v_fma_f64 v[14:15], v[64:65], s[40:41], v[110:111]
	v_add_f64 v[161:162], v[2:3], v[161:162]
	v_add_f64 v[163:164], v[0:1], v[163:164]
	;; [unrolled: 1-line block ×4, first 2 shown]
	v_fma_f64 v[16:17], v[68:69], s[38:39], v[122:123]
	v_fma_f64 v[18:19], v[64:65], s[44:45], v[110:111]
	v_fma_f64 v[110:111], v[68:69], s[38:39], -v[122:123]
	v_fma_f64 v[122:123], v[72:73], s[44:45], v[169:170]
	v_add_f64 v[191:192], v[2:3], v[191:192]
	v_add_f64 v[193:194], v[0:1], v[193:194]
	;; [unrolled: 1-line block ×3, first 2 shown]
	v_fma_f64 v[223:224], v[76:77], s[38:39], v[179:180]
	v_fma_f64 v[169:170], v[72:73], s[40:41], v[169:170]
	v_fma_f64 v[157:158], v[90:91], s[20:21], -v[157:158]
	v_add_f64 v[52:53], v[24:25], -v[32:33]
	v_add_f64 v[54:55], v[24:25], v[32:33]
	v_mul_f64 v[106:107], v[58:59], s[22:23]
	v_mul_f64 v[116:117], v[62:63], s[30:31]
	;; [unrolled: 1-line block ×6, first 2 shown]
	v_add_f64 v[161:162], v[187:188], v[161:162]
	v_add_f64 v[163:164], v[189:190], v[163:164]
	v_add_f64 v[100:101], v[114:115], v[100:101]
	v_add_f64 v[102:103], v[120:121], v[102:103]
	v_mul_f64 v[114:115], v[84:85], s[22:23]
	v_mul_f64 v[209:210], v[94:95], s[10:11]
	;; [unrolled: 1-line block ×3, first 2 shown]
	v_fma_f64 v[181:182], v[86:87], s[22:23], -v[181:182]
	v_add_f64 v[191:192], v[215:216], v[191:192]
	v_add_f64 v[193:194], v[217:218], v[193:194]
	v_add_f64 v[155:156], v[171:172], v[155:156]
	v_fma_f64 v[217:218], v[92:93], s[36:37], v[197:198]
	v_fma_f64 v[171:172], v[60:61], s[28:29], v[118:119]
	v_fma_f64 v[118:119], v[60:61], s[28:29], -v[118:119]
	v_fma_f64 v[215:216], v[68:69], s[10:11], v[177:178]
	v_fma_f64 v[225:226], v[90:91], s[28:29], v[205:206]
	v_add_f64 v[157:158], v[0:1], v[157:158]
	v_mul_f64 v[173:174], v[62:63], s[34:35]
	v_mul_f64 v[183:184], v[74:75], s[22:23]
	;; [unrolled: 1-line block ×5, first 2 shown]
	v_add_f64 v[161:162], v[211:212], v[161:162]
	v_add_f64 v[163:164], v[213:214], v[163:164]
	;; [unrolled: 1-line block ×4, first 2 shown]
	v_fma_f64 v[112:113], v[56:57], s[36:37], v[108:109]
	v_fma_f64 v[108:109], v[56:57], s[34:35], v[108:109]
	v_fma_f64 v[213:214], v[64:65], s[14:15], v[167:168]
	v_fma_f64 v[167:168], v[64:65], s[42:43], v[167:168]
	v_add_f64 v[122:123], v[122:123], v[191:192]
	v_add_f64 v[191:192], v[223:224], v[193:194]
	;; [unrolled: 1-line block ×3, first 2 shown]
	v_fma_f64 v[169:170], v[90:91], s[28:29], -v[205:206]
	v_fma_f64 v[193:194], v[80:81], s[16:17], v[195:196]
	v_fma_f64 v[205:206], v[92:93], s[30:31], v[114:115]
	v_add_f64 v[217:218], v[2:3], v[217:218]
	v_fma_f64 v[12:13], v[52:53], s[18:19], v[106:107]
	v_fma_f64 v[124:125], v[54:55], s[22:23], v[116:117]
	;; [unrolled: 1-line block ×3, first 2 shown]
	v_fma_f64 v[116:117], v[54:55], s[22:23], -v[116:117]
	v_fma_f64 v[223:224], v[90:91], s[22:23], v[189:190]
	v_add_f64 v[225:226], v[0:1], v[225:226]
	v_add_f64 v[157:158], v[181:182], v[157:158]
	;; [unrolled: 1-line block ×6, first 2 shown]
	v_fma_f64 v[163:164], v[92:93], s[34:35], v[197:198]
	v_fma_f64 v[102:103], v[56:57], s[4:5], v[165:166]
	;; [unrolled: 1-line block ×5, first 2 shown]
	v_add_f64 v[122:123], v[213:214], v[122:123]
	v_add_f64 v[181:182], v[215:216], v[191:192]
	;; [unrolled: 1-line block ×3, first 2 shown]
	v_fma_f64 v[167:168], v[86:87], s[20:21], -v[203:204]
	v_add_f64 v[169:170], v[0:1], v[169:170]
	v_add_f64 v[193:194], v[193:194], v[217:218]
	v_add_f64 v[6:7], v[219:220], v[6:7]
	v_add_f64 v[4:5], v[221:222], v[4:5]
	v_mul_f64 v[199:200], v[78:79], s[18:19]
	v_mul_f64 v[120:121], v[88:89], s[36:37]
	v_fma_f64 v[110:111], v[54:55], s[28:29], v[173:174]
	v_fma_f64 v[179:180], v[76:77], s[38:39], -v[179:180]
	v_fma_f64 v[191:192], v[86:87], s[10:11], v[187:188]
	v_add_f64 v[14:15], v[112:113], v[14:15]
	v_add_f64 v[16:17], v[171:172], v[16:17]
	;; [unrolled: 1-line block ×4, first 2 shown]
	v_fma_f64 v[112:113], v[68:69], s[10:11], -v[177:178]
	v_fma_f64 v[118:119], v[80:81], s[24:25], v[195:196]
	v_add_f64 v[163:164], v[2:3], v[163:164]
	v_fma_f64 v[171:172], v[72:73], s[4:5], v[185:186]
	v_fma_f64 v[177:178], v[80:81], s[42:43], v[209:210]
	v_add_f64 v[195:196], v[2:3], v[205:206]
	v_fma_f64 v[108:109], v[54:55], s[28:29], -v[173:174]
	v_fma_f64 v[173:174], v[76:77], s[6:7], v[201:202]
	v_add_f64 v[203:204], v[0:1], v[223:224]
	v_add_f64 v[197:198], v[197:198], v[225:226]
	;; [unrolled: 1-line block ×5, first 2 shown]
	v_fma_f64 v[114:115], v[92:93], s[18:19], v[114:115]
	v_mul_f64 v[161:162], v[66:67], s[10:11]
	v_mul_f64 v[165:166], v[74:75], s[6:7]
	v_add_f64 v[6:7], v[6:7], v[10:11]
	v_add_f64 v[4:5], v[4:5], v[8:9]
	;; [unrolled: 1-line block ×6, first 2 shown]
	v_fma_f64 v[106:107], v[72:73], s[26:27], v[185:186]
	v_add_f64 v[124:125], v[167:168], v[169:170]
	v_add_f64 v[116:117], v[118:119], v[163:164]
	v_fma_f64 v[118:119], v[76:77], s[6:7], -v[201:202]
	v_fma_f64 v[163:164], v[64:65], s[30:31], v[183:184]
	v_fma_f64 v[167:168], v[72:73], s[34:35], v[207:208]
	v_add_f64 v[169:170], v[177:178], v[195:196]
	v_add_f64 v[171:172], v[171:172], v[193:194]
	;; [unrolled: 1-line block ×3, first 2 shown]
	v_fma_f64 v[100:101], v[60:61], s[6:7], -v[175:176]
	v_mul_f64 v[175:176], v[70:71], s[42:43]
	v_mul_f64 v[177:178], v[78:79], s[26:27]
	v_fma_f64 v[179:180], v[76:77], s[28:29], v[120:121]
	v_add_f64 v[181:182], v[191:192], v[203:204]
	v_fma_f64 v[185:186], v[68:69], s[22:23], v[199:200]
	v_add_f64 v[173:174], v[173:174], v[197:198]
	v_fma_f64 v[183:184], v[64:65], s[18:19], v[183:184]
	v_fma_f64 v[191:192], v[80:81], s[14:15], v[209:210]
	v_add_f64 v[114:115], v[2:3], v[114:115]
	v_fma_f64 v[189:190], v[90:91], s[22:23], -v[189:190]
	v_mul_f64 v[193:194], v[66:67], s[38:39]
	v_fma_f64 v[195:196], v[64:65], s[4:5], v[165:166]
	v_add_f64 v[6:7], v[6:7], v[22:23]
	v_add_f64 v[4:5], v[4:5], v[20:21]
	;; [unrolled: 1-line block ×3, first 2 shown]
	v_fma_f64 v[116:117], v[68:69], s[22:23], -v[199:200]
	v_add_f64 v[118:119], v[118:119], v[124:125]
	v_fma_f64 v[124:125], v[56:57], s[14:15], v[161:162]
	v_add_f64 v[167:168], v[167:168], v[169:170]
	v_add_f64 v[163:164], v[163:164], v[171:172]
	;; [unrolled: 1-line block ×3, first 2 shown]
	v_mul_f64 v[157:158], v[58:59], s[38:39]
	v_mul_f64 v[169:170], v[62:63], s[44:45]
	v_mul_f64 v[171:172], v[70:71], s[40:41]
	v_fma_f64 v[197:198], v[68:69], s[6:7], v[177:178]
	v_add_f64 v[179:180], v[179:180], v[181:182]
	v_fma_f64 v[181:182], v[60:61], s[10:11], v[175:176]
	v_add_f64 v[173:174], v[185:186], v[173:174]
	v_fma_f64 v[8:9], v[56:57], s[42:43], v[161:162]
	v_fma_f64 v[10:11], v[72:73], s[36:37], v[207:208]
	v_add_f64 v[114:115], v[191:192], v[114:115]
	v_fma_f64 v[161:162], v[60:61], s[10:11], -v[175:176]
	v_add_f64 v[175:176], v[0:1], v[189:190]
	v_fma_f64 v[185:186], v[56:57], s[44:45], v[193:194]
	v_mul_f64 v[20:21], v[98:99], s[4:5]
	v_mul_f64 v[22:23], v[98:99], s[40:41]
	v_add_f64 v[106:107], v[183:184], v[106:107]
	v_add_f64 v[6:7], v[6:7], v[26:27]
	;; [unrolled: 1-line block ×3, first 2 shown]
	v_fma_f64 v[118:119], v[86:87], s[10:11], -v[187:188]
	v_add_f64 v[167:168], v[195:196], v[167:168]
	v_add_f64 v[124:125], v[124:125], v[163:164]
	v_mul_f64 v[163:164], v[84:85], s[38:39]
	v_mul_f64 v[84:85], v[84:85], s[6:7]
	v_add_f64 v[4:5], v[4:5], v[24:25]
	v_add_f64 v[100:101], v[100:101], v[112:113]
	v_fma_f64 v[112:113], v[52:53], s[40:41], v[157:158]
	v_fma_f64 v[189:190], v[60:61], s[38:39], v[171:172]
	v_add_f64 v[179:180], v[197:198], v[179:180]
	v_fma_f64 v[191:192], v[54:55], s[38:39], v[169:170]
	v_fma_f64 v[98:99], v[52:53], s[44:45], v[157:158]
	;; [unrolled: 1-line block ×3, first 2 shown]
	v_add_f64 v[10:11], v[10:11], v[114:115]
	v_fma_f64 v[114:115], v[76:77], s[28:29], -v[120:121]
	v_add_f64 v[173:174], v[181:182], v[173:174]
	v_fma_f64 v[181:182], v[56:57], s[40:41], v[193:194]
	v_fma_f64 v[24:25], v[90:91], s[6:7], -v[20:21]
	v_fma_f64 v[26:27], v[90:91], s[38:39], -v[22:23]
	v_add_f64 v[8:9], v[8:9], v[106:107]
	v_fma_f64 v[106:107], v[54:55], s[38:39], -v[169:170]
	v_fma_f64 v[22:23], v[90:91], s[38:39], v[22:23]
	v_add_f64 v[118:119], v[118:119], v[175:176]
	v_add_f64 v[157:158], v[185:186], v[167:168]
	v_mul_f64 v[167:168], v[94:95], s[28:29]
	v_fma_f64 v[169:170], v[92:93], s[40:41], v[163:164]
	v_mul_f64 v[175:176], v[96:97], s[34:35]
	v_mul_f64 v[94:95], v[94:95], s[38:39]
	v_fma_f64 v[185:186], v[92:93], s[4:5], v[84:85]
	v_mul_f64 v[96:97], v[96:97], s[40:41]
	v_fma_f64 v[163:164], v[92:93], s[44:45], v[163:164]
	v_fma_f64 v[84:85], v[92:93], s[26:27], v[84:85]
	;; [unrolled: 1-line block ×3, first 2 shown]
	v_add_f64 v[6:7], v[6:7], v[34:35]
	v_add_f64 v[4:5], v[4:5], v[32:33]
	;; [unrolled: 1-line block ×3, first 2 shown]
	v_mul_f64 v[92:93], v[82:83], s[10:11]
	v_mul_f64 v[90:91], v[88:89], s[14:15]
	;; [unrolled: 1-line block ×4, first 2 shown]
	v_add_f64 v[24:25], v[0:1], v[24:25]
	v_add_f64 v[10:11], v[165:166], v[10:11]
	v_fma_f64 v[165:166], v[60:61], s[38:39], -v[171:172]
	v_fma_f64 v[171:172], v[68:69], s[6:7], -v[177:178]
	v_add_f64 v[114:115], v[114:115], v[118:119]
	v_add_f64 v[26:27], v[0:1], v[26:27]
	v_fma_f64 v[118:119], v[80:81], s[34:35], v[167:168]
	v_add_f64 v[169:170], v[2:3], v[169:170]
	v_fma_f64 v[177:178], v[86:87], s[28:29], -v[175:176]
	v_fma_f64 v[189:190], v[80:81], s[40:41], v[94:95]
	v_add_f64 v[185:186], v[2:3], v[185:186]
	v_fma_f64 v[193:194], v[86:87], s[38:39], -v[96:97]
	v_fma_f64 v[34:35], v[80:81], s[36:37], v[167:168]
	v_add_f64 v[163:164], v[2:3], v[163:164]
	v_fma_f64 v[167:168], v[86:87], s[28:29], v[175:176]
	v_add_f64 v[22:23], v[0:1], v[22:23]
	;; [unrolled: 2-line block ×4, first 2 shown]
	v_add_f64 v[6:7], v[6:7], v[38:39]
	v_add_f64 v[4:5], v[4:5], v[36:37]
	v_mul_f64 v[32:33], v[74:75], s[20:21]
	v_mul_f64 v[20:21], v[78:79], s[24:25]
	v_fma_f64 v[86:87], v[72:73], s[14:15], v[92:93]
	v_mul_f64 v[74:75], v[74:75], s[28:29]
	v_mul_f64 v[78:79], v[78:79], s[34:35]
	v_fma_f64 v[175:176], v[76:77], s[22:23], -v[88:89]
	v_fma_f64 v[96:97], v[76:77], s[10:11], -v[90:91]
	v_add_f64 v[94:95], v[118:119], v[169:170]
	v_fma_f64 v[118:119], v[72:73], s[18:19], v[82:83]
	v_add_f64 v[26:27], v[177:178], v[26:27]
	v_add_f64 v[169:170], v[189:190], v[185:186]
	;; [unrolled: 1-line block ×3, first 2 shown]
	v_fma_f64 v[38:39], v[72:73], s[42:43], v[92:93]
	v_add_f64 v[34:35], v[34:35], v[163:164]
	v_fma_f64 v[90:91], v[76:77], s[10:11], v[90:91]
	v_add_f64 v[22:23], v[167:168], v[22:23]
	;; [unrolled: 2-line block ×4, first 2 shown]
	v_add_f64 v[6:7], v[6:7], v[30:31]
	v_add_f64 v[4:5], v[4:5], v[28:29]
	v_mul_f64 v[36:37], v[66:67], s[22:23]
	v_mul_f64 v[80:81], v[70:71], s[30:31]
	v_fma_f64 v[82:83], v[64:65], s[24:25], v[32:33]
	v_mul_f64 v[66:67], v[66:67], s[20:21]
	v_mul_f64 v[70:71], v[70:71], s[16:17]
	v_fma_f64 v[88:89], v[64:65], s[34:35], v[74:75]
	v_fma_f64 v[30:31], v[64:65], s[16:17], v[32:33]
	v_add_f64 v[84:85], v[86:87], v[94:95]
	v_fma_f64 v[94:95], v[68:69], s[28:29], -v[78:79]
	v_fma_f64 v[86:87], v[68:69], s[20:21], -v[20:21]
	v_add_f64 v[92:93], v[118:119], v[169:170]
	v_add_f64 v[24:25], v[175:176], v[24:25]
	;; [unrolled: 1-line block ×4, first 2 shown]
	v_fma_f64 v[20:21], v[68:69], s[20:21], v[20:21]
	v_add_f64 v[22:23], v[90:91], v[22:23]
	v_fma_f64 v[34:35], v[64:65], s[36:37], v[74:75]
	v_add_f64 v[2:3], v[72:73], v[2:3]
	;; [unrolled: 2-line block ×3, first 2 shown]
	v_mul_f64 v[183:184], v[58:59], s[20:21]
	v_add_f64 v[6:7], v[6:7], v[50:51]
	v_add_f64 v[4:5], v[4:5], v[48:49]
	v_mul_f64 v[159:160], v[58:59], s[28:29]
	v_mul_f64 v[187:188], v[62:63], s[16:17]
	v_mul_f64 v[28:29], v[58:59], s[6:7]
	v_mul_f64 v[64:65], v[62:63], s[26:27]
	v_fma_f64 v[68:69], v[56:57], s[30:31], v[36:37]
	v_mul_f64 v[58:59], v[58:59], s[10:11]
	v_add_f64 v[72:73], v[82:83], v[84:85]
	v_mul_f64 v[62:63], v[62:63], s[14:15]
	v_fma_f64 v[76:77], v[56:57], s[16:17], v[66:67]
	v_add_f64 v[78:79], v[88:89], v[92:93]
	v_fma_f64 v[82:83], v[60:61], s[20:21], -v[70:71]
	v_add_f64 v[24:25], v[94:95], v[24:25]
	v_fma_f64 v[74:75], v[60:61], s[22:23], -v[80:81]
	v_add_f64 v[26:27], v[86:87], v[26:27]
	v_add_f64 v[48:49], v[171:172], v[114:115]
	v_fma_f64 v[36:37], v[56:57], s[18:19], v[36:37]
	v_add_f64 v[30:31], v[30:31], v[32:33]
	v_fma_f64 v[32:33], v[60:61], s[22:23], v[80:81]
	;; [unrolled: 2-line block ×5, first 2 shown]
	v_add_f64 v[50:51], v[181:182], v[10:11]
	v_add_f64 v[46:47], v[6:7], v[46:47]
	;; [unrolled: 1-line block ×3, first 2 shown]
	v_fma_f64 v[70:71], v[52:53], s[14:15], v[58:59]
	v_add_f64 v[66:67], v[68:69], v[72:73]
	v_fma_f64 v[60:61], v[52:53], s[26:27], v[28:29]
	v_fma_f64 v[68:69], v[54:55], s[6:7], -v[64:65]
	v_add_f64 v[72:73], v[76:77], v[78:79]
	v_fma_f64 v[76:77], v[54:55], s[10:11], -v[62:63]
	v_add_f64 v[24:25], v[82:83], v[24:25]
	v_fma_f64 v[56:57], v[54:55], s[20:21], -v[187:188]
	v_add_f64 v[74:75], v[74:75], v[26:27]
	v_add_f64 v[48:49], v[165:166], v[48:49]
	v_add_f64 v[116:117], v[161:162], v[116:117]
	v_fma_f64 v[211:212], v[52:53], s[36:37], v[159:160]
	v_fma_f64 v[159:160], v[52:53], s[34:35], v[159:160]
	;; [unrolled: 1-line block ×5, first 2 shown]
	v_add_f64 v[80:81], v[36:37], v[30:31]
	v_fma_f64 v[64:65], v[54:55], s[6:7], v[64:65]
	v_add_f64 v[82:83], v[32:33], v[20:21]
	v_fma_f64 v[52:53], v[52:53], s[42:43], v[58:59]
	;; [unrolled: 2-line block ×3, first 2 shown]
	v_add_f64 v[62:63], v[34:35], v[0:1]
	v_add_f64 v[26:27], v[38:39], v[50:51]
	;; [unrolled: 1-line block ×23, first 2 shown]
	v_mul_i32_i24_e32 v52, 0xd0, v153
	v_add3_u32 v52, 0, v52, v154
	ds_write_b128 v52, v[36:39]
	ds_write_b128 v52, v[32:35] offset:16
	ds_write_b128 v52, v[28:31] offset:32
	;; [unrolled: 1-line block ×12, first 2 shown]
.LBB0_15:
	s_or_b32 exec_lo, exec_lo, s1
	v_lshlrev_b32_e32 v35, 2, v149
	v_mov_b32_e32 v36, 0
	s_waitcnt lgkmcnt(0)
	s_barrier
	buffer_gl0_inv
	v_mov_b32_e32 v66, 6
	v_lshlrev_b64 v[0:1], 4, v[35:36]
	s_mov_b32 s10, 0x134454ff
	s_mov_b32 s11, 0x3fee6f0e
	;; [unrolled: 1-line block ×5, first 2 shown]
	v_add_co_u32 v0, s0, s8, v0
	v_add_co_ci_u32_e64 v1, s0, s9, v1, s0
	s_mov_b32 s5, 0x3fe2cf23
	s_mov_b32 s7, 0xbfe2cf23
	s_clause 0x3
	global_load_dwordx4 v[2:5], v[0:1], off
	global_load_dwordx4 v[6:9], v[0:1], off offset:16
	global_load_dwordx4 v[10:13], v[0:1], off offset:32
	global_load_dwordx4 v[14:17], v[0:1], off offset:48
	ds_read_b128 v[18:21], v152 offset:1040
	ds_read_b128 v[22:25], v152 offset:1248
	ds_read_b128 v[26:29], v152 offset:2080
	ds_read_b128 v[30:33], v152 offset:2288
	ds_read_b128 v[41:44], v152 offset:2496
	ds_read_b128 v[54:57], v152 offset:1872
	s_mov_b32 s6, s4
	s_mov_b32 s16, 0x372fe950
	s_mov_b32 s17, 0x3fd3c6ef
	ds_read_b128 v[58:61], v152 offset:3952
	s_waitcnt vmcnt(3) lgkmcnt(6)
	v_mul_f64 v[34:35], v[20:21], v[4:5]
	v_mul_f64 v[37:38], v[18:19], v[4:5]
	s_waitcnt lgkmcnt(5)
	v_mul_f64 v[39:40], v[24:25], v[4:5]
	v_mul_f64 v[4:5], v[22:23], v[4:5]
	v_fma_f64 v[70:71], v[18:19], v[2:3], -v[34:35]
	v_fma_f64 v[72:73], v[20:21], v[2:3], v[37:38]
	s_waitcnt vmcnt(2) lgkmcnt(4)
	v_mul_f64 v[18:19], v[28:29], v[8:9]
	v_mul_f64 v[20:21], v[26:27], v[8:9]
	v_fma_f64 v[90:91], v[22:23], v[2:3], -v[39:40]
	s_waitcnt lgkmcnt(3)
	v_mul_f64 v[22:23], v[32:33], v[8:9]
	v_mul_f64 v[8:9], v[30:31], v[8:9]
	v_fma_f64 v[92:93], v[24:25], v[2:3], v[4:5]
	ds_read_b128 v[2:5], v152 offset:3120
	v_fma_f64 v[74:75], v[26:27], v[6:7], -v[18:19]
	v_fma_f64 v[76:77], v[28:29], v[6:7], v[20:21]
	ds_read_b128 v[18:21], v152 offset:3328
	v_fma_f64 v[94:95], v[30:31], v[6:7], -v[22:23]
	v_fma_f64 v[96:97], v[32:33], v[6:7], v[8:9]
	s_waitcnt vmcnt(1) lgkmcnt(1)
	v_mul_f64 v[6:7], v[4:5], v[12:13]
	v_mul_f64 v[8:9], v[2:3], v[12:13]
	s_waitcnt lgkmcnt(0)
	v_mul_f64 v[22:23], v[20:21], v[12:13]
	v_mul_f64 v[12:13], v[18:19], v[12:13]
	v_fma_f64 v[78:79], v[2:3], v[10:11], -v[6:7]
	v_fma_f64 v[80:81], v[4:5], v[10:11], v[8:9]
	ds_read_b128 v[2:5], v152 offset:4160
	v_fma_f64 v[98:99], v[18:19], v[10:11], -v[22:23]
	v_fma_f64 v[101:102], v[20:21], v[10:11], v[12:13]
	s_waitcnt vmcnt(0) lgkmcnt(0)
	v_mul_f64 v[6:7], v[4:5], v[16:17]
	v_mul_f64 v[8:9], v[2:3], v[16:17]
	v_add_f64 v[112:113], v[76:77], -v[80:81]
	v_add_f64 v[116:117], v[74:75], -v[78:79]
	v_add_f64 v[120:121], v[94:95], -v[98:99]
	v_fma_f64 v[82:83], v[2:3], v[14:15], -v[6:7]
	v_fma_f64 v[84:85], v[4:5], v[14:15], v[8:9]
	ds_read_b128 v[2:5], v152 offset:4368
	ds_read_b128 v[6:9], v152 offset:4576
	s_waitcnt lgkmcnt(1)
	v_mul_f64 v[10:11], v[4:5], v[16:17]
	v_add_f64 v[114:115], v[70:71], -v[82:83]
	v_add_f64 v[110:111], v[72:73], -v[84:85]
	v_fma_f64 v[106:107], v[2:3], v[14:15], -v[10:11]
	v_mul_f64 v[2:3], v[2:3], v[16:17]
	v_add_f64 v[118:119], v[90:91], -v[106:107]
	v_fma_f64 v[108:109], v[4:5], v[14:15], v[2:3]
	v_and_b32_e32 v2, 0xff, v150
	v_mul_lo_u16 v2, 0x4f, v2
	v_lshrrev_b16 v2, 10, v2
	v_mul_lo_u16 v2, v2, 13
	v_sub_nc_u16 v51, v150, v2
	v_lshlrev_b32_sdwa v20, v66, v51 dst_sel:DWORD dst_unused:UNUSED_PAD src0_sel:DWORD src1_sel:BYTE_0
	s_clause 0x1
	global_load_dwordx4 v[2:5], v20, s[8:9]
	global_load_dwordx4 v[10:13], v20, s[8:9] offset:16
	ds_read_b128 v[14:17], v152 offset:1456
	ds_read_b128 v[22:25], v152 offset:1664
	s_waitcnt vmcnt(1) lgkmcnt(1)
	v_mul_f64 v[18:19], v[16:17], v[4:5]
	v_mul_f64 v[4:5], v[14:15], v[4:5]
	v_fma_f64 v[37:38], v[14:15], v[2:3], -v[18:19]
	v_fma_f64 v[34:35], v[16:17], v[2:3], v[4:5]
	s_waitcnt vmcnt(0)
	v_mul_f64 v[2:3], v[43:44], v[12:13]
	v_fma_f64 v[39:40], v[41:42], v[10:11], -v[2:3]
	v_mul_f64 v[2:3], v[41:42], v[12:13]
	v_add_f64 v[122:123], v[39:40], -v[37:38]
	v_fma_f64 v[41:42], v[43:44], v[10:11], v[2:3]
	s_clause 0x1
	global_load_dwordx4 v[2:5], v20, s[8:9] offset:32
	global_load_dwordx4 v[10:13], v20, s[8:9] offset:48
	ds_read_b128 v[14:17], v152 offset:3536
	ds_read_b128 v[30:33], v152 offset:3744
	s_waitcnt vmcnt(1) lgkmcnt(1)
	v_mul_f64 v[18:19], v[16:17], v[4:5]
	v_mul_f64 v[4:5], v[14:15], v[4:5]
	v_fma_f64 v[45:46], v[14:15], v[2:3], -v[18:19]
	v_fma_f64 v[43:44], v[16:17], v[2:3], v[4:5]
	s_waitcnt vmcnt(0)
	v_mul_f64 v[2:3], v[8:9], v[12:13]
	v_fma_f64 v[47:48], v[6:7], v[10:11], -v[2:3]
	v_mul_f64 v[2:3], v[6:7], v[12:13]
	v_fma_f64 v[49:50], v[8:9], v[10:11], v[2:3]
	v_and_b32_e32 v2, 0xff, v147
	v_mul_lo_u16 v2, 0x4f, v2
	v_lshrrev_b16 v2, 10, v2
	v_mul_lo_u16 v2, v2, 13
	v_sub_nc_u16 v52, v147, v2
	v_lshlrev_b32_sdwa v16, v66, v52 dst_sel:DWORD dst_unused:UNUSED_PAD src0_sel:DWORD src1_sel:BYTE_0
	s_clause 0x1
	global_load_dwordx4 v[2:5], v16, s[8:9]
	global_load_dwordx4 v[6:9], v16, s[8:9] offset:16
	s_waitcnt vmcnt(1)
	v_mul_f64 v[10:11], v[24:25], v[4:5]
	v_mul_f64 v[4:5], v[22:23], v[4:5]
	v_fma_f64 v[20:21], v[22:23], v[2:3], -v[10:11]
	v_fma_f64 v[18:19], v[24:25], v[2:3], v[4:5]
	ds_read_b128 v[2:5], v152 offset:2704
	ds_read_b128 v[10:13], v152 offset:2912
	s_waitcnt vmcnt(0) lgkmcnt(1)
	v_mul_f64 v[14:15], v[4:5], v[8:9]
	v_fma_f64 v[22:23], v[2:3], v[6:7], -v[14:15]
	v_mul_f64 v[2:3], v[2:3], v[8:9]
	v_fma_f64 v[24:25], v[4:5], v[6:7], v[2:3]
	s_clause 0x1
	global_load_dwordx4 v[2:5], v16, s[8:9] offset:32
	global_load_dwordx4 v[6:9], v16, s[8:9] offset:48
	s_waitcnt vmcnt(1)
	v_mul_f64 v[14:15], v[32:33], v[4:5]
	v_mul_f64 v[4:5], v[30:31], v[4:5]
	v_fma_f64 v[28:29], v[30:31], v[2:3], -v[14:15]
	v_fma_f64 v[26:27], v[32:33], v[2:3], v[4:5]
	ds_read_b128 v[2:5], v152 offset:4784
	ds_read_b128 v[62:65], v152 offset:4992
	s_waitcnt vmcnt(0) lgkmcnt(1)
	v_mul_f64 v[14:15], v[4:5], v[8:9]
	v_add_f64 v[124:125], v[22:23], -v[28:29]
	v_fma_f64 v[30:31], v[2:3], v[6:7], -v[14:15]
	v_mul_f64 v[2:3], v[2:3], v[8:9]
	v_fma_f64 v[32:33], v[4:5], v[6:7], v[2:3]
	v_and_b32_e32 v2, 0xff, v146
	v_mul_lo_u16 v2, 0x4f, v2
	v_lshrrev_b16 v2, 10, v2
	v_mul_lo_u16 v2, v2, 13
	v_sub_nc_u16 v53, v146, v2
	v_lshlrev_b32_sdwa v66, v66, v53 dst_sel:DWORD dst_unused:UNUSED_PAD src0_sel:DWORD src1_sel:BYTE_0
	s_clause 0x1
	global_load_dwordx4 v[6:9], v66, s[8:9]
	global_load_dwordx4 v[14:17], v66, s[8:9] offset:16
	s_waitcnt vmcnt(1)
	v_mul_f64 v[2:3], v[56:57], v[8:9]
	v_fma_f64 v[4:5], v[54:55], v[6:7], -v[2:3]
	v_mul_f64 v[2:3], v[54:55], v[8:9]
	s_waitcnt vmcnt(0)
	v_mul_f64 v[8:9], v[10:11], v[16:17]
	v_fma_f64 v[2:3], v[56:57], v[6:7], v[2:3]
	v_mul_f64 v[6:7], v[12:13], v[16:17]
	v_fma_f64 v[8:9], v[12:13], v[14:15], v[8:9]
	v_fma_f64 v[6:7], v[10:11], v[14:15], -v[6:7]
	s_clause 0x1
	global_load_dwordx4 v[14:17], v66, s[8:9] offset:32
	global_load_dwordx4 v[54:57], v66, s[8:9] offset:48
	s_waitcnt vmcnt(1)
	v_mul_f64 v[10:11], v[60:61], v[16:17]
	v_fma_f64 v[12:13], v[58:59], v[14:15], -v[10:11]
	v_mul_f64 v[10:11], v[58:59], v[16:17]
	s_waitcnt vmcnt(0) lgkmcnt(0)
	v_mul_f64 v[16:17], v[62:63], v[56:57]
	v_fma_f64 v[10:11], v[60:61], v[14:15], v[10:11]
	v_mul_f64 v[14:15], v[64:65], v[56:57]
	v_fma_f64 v[16:17], v[64:65], v[54:55], v[16:17]
	v_add_f64 v[56:57], v[82:83], -v[78:79]
	v_fma_f64 v[14:15], v[62:63], v[54:55], -v[14:15]
	v_add_f64 v[54:55], v[70:71], -v[74:75]
	v_add_f64 v[62:63], v[74:75], v[78:79]
	v_add_f64 v[66:67], v[54:55], v[56:57]
	v_add_f64 v[54:55], v[72:73], -v[76:77]
	v_add_f64 v[56:57], v[84:85], -v[80:81]
	v_add_f64 v[68:69], v[54:55], v[56:57]
	ds_read_b128 v[54:57], v151
	ds_read_b128 v[58:61], v152 offset:416
	s_waitcnt lgkmcnt(1)
	v_fma_f64 v[86:87], v[62:63], -0.5, v[54:55]
	v_add_f64 v[62:63], v[76:77], v[80:81]
	v_fma_f64 v[88:89], v[62:63], -0.5, v[56:57]
	v_fma_f64 v[62:63], v[110:111], s[10:11], v[86:87]
	v_fma_f64 v[86:87], v[110:111], s[14:15], v[86:87]
	;; [unrolled: 1-line block ×10, first 2 shown]
	v_add_f64 v[86:87], v[70:71], v[82:83]
	v_fma_f64 v[64:65], v[68:69], s[16:17], v[64:65]
	v_fma_f64 v[68:69], v[68:69], s[16:17], v[88:89]
	v_add_f64 v[88:89], v[72:73], v[84:85]
	v_fma_f64 v[86:87], v[86:87], -0.5, v[54:55]
	v_add_f64 v[54:55], v[54:55], v[70:71]
	v_add_f64 v[70:71], v[74:75], -v[70:71]
	v_fma_f64 v[88:89], v[88:89], -0.5, v[56:57]
	v_add_f64 v[56:57], v[56:57], v[72:73]
	v_add_f64 v[72:73], v[76:77], -v[72:73]
	v_add_f64 v[54:55], v[54:55], v[74:75]
	v_add_f64 v[74:75], v[78:79], -v[82:83]
	;; [unrolled: 2-line block ×3, first 2 shown]
	v_add_f64 v[54:55], v[54:55], v[78:79]
	v_fma_f64 v[78:79], v[112:113], s[14:15], v[86:87]
	v_add_f64 v[74:75], v[70:71], v[74:75]
	v_add_f64 v[56:57], v[56:57], v[80:81]
	v_fma_f64 v[80:81], v[112:113], s[10:11], v[86:87]
	v_add_f64 v[54:55], v[54:55], v[82:83]
	v_fma_f64 v[82:83], v[116:117], s[10:11], v[88:89]
	;; [unrolled: 2-line block ×4, first 2 shown]
	v_fma_f64 v[78:79], v[110:111], s[6:7], v[80:81]
	v_fma_f64 v[72:73], v[114:115], s[6:7], v[82:83]
	v_add_f64 v[82:83], v[94:95], v[98:99]
	v_fma_f64 v[70:71], v[74:75], s[16:17], v[70:71]
	v_add_f64 v[116:117], v[96:97], -v[101:102]
	v_fma_f64 v[80:81], v[114:115], s[4:5], v[84:85]
	v_fma_f64 v[74:75], v[74:75], s[16:17], v[78:79]
	;; [unrolled: 1-line block ×3, first 2 shown]
	v_add_f64 v[78:79], v[90:91], -v[94:95]
	v_add_f64 v[114:115], v[92:93], -v[108:109]
	v_fma_f64 v[76:77], v[76:77], s[16:17], v[80:81]
	v_add_f64 v[80:81], v[106:107], -v[98:99]
	v_add_f64 v[86:87], v[78:79], v[80:81]
	v_add_f64 v[78:79], v[92:93], -v[96:97]
	v_add_f64 v[80:81], v[108:109], -v[101:102]
	v_add_f64 v[88:89], v[78:79], v[80:81]
	v_lshlrev_b32_e32 v78, 4, v153
	v_add3_u32 v100, 0, v78, v154
	ds_read_b128 v[78:81], v100
	s_waitcnt lgkmcnt(0)
	v_fma_f64 v[110:111], v[82:83], -0.5, v[78:79]
	v_add_f64 v[82:83], v[96:97], v[101:102]
	v_fma_f64 v[112:113], v[82:83], -0.5, v[80:81]
	v_fma_f64 v[82:83], v[114:115], s[10:11], v[110:111]
	v_fma_f64 v[110:111], v[114:115], s[14:15], v[110:111]
	;; [unrolled: 1-line block ×10, first 2 shown]
	v_add_f64 v[110:111], v[90:91], v[106:107]
	v_fma_f64 v[84:85], v[88:89], s[16:17], v[84:85]
	v_fma_f64 v[88:89], v[88:89], s[16:17], v[112:113]
	v_add_f64 v[112:113], v[92:93], v[108:109]
	v_fma_f64 v[110:111], v[110:111], -0.5, v[78:79]
	v_add_f64 v[78:79], v[78:79], v[90:91]
	v_add_f64 v[90:91], v[94:95], -v[90:91]
	v_fma_f64 v[112:113], v[112:113], -0.5, v[80:81]
	v_add_f64 v[80:81], v[80:81], v[92:93]
	v_add_f64 v[92:93], v[96:97], -v[92:93]
	v_add_f64 v[78:79], v[78:79], v[94:95]
	v_add_f64 v[94:95], v[98:99], -v[106:107]
	;; [unrolled: 2-line block ×3, first 2 shown]
	v_add_f64 v[78:79], v[78:79], v[98:99]
	v_fma_f64 v[98:99], v[116:117], s[14:15], v[110:111]
	v_add_f64 v[94:95], v[90:91], v[94:95]
	v_add_f64 v[80:81], v[80:81], v[101:102]
	v_fma_f64 v[101:102], v[116:117], s[10:11], v[110:111]
	v_add_f64 v[78:79], v[78:79], v[106:107]
	v_fma_f64 v[106:107], v[120:121], s[10:11], v[112:113]
	;; [unrolled: 2-line block ×3, first 2 shown]
	v_add_f64 v[116:117], v[41:42], -v[43:44]
	v_add_f64 v[80:81], v[80:81], v[108:109]
	v_fma_f64 v[108:109], v[120:121], s[14:15], v[112:113]
	v_fma_f64 v[98:99], v[114:115], s[6:7], v[101:102]
	;; [unrolled: 1-line block ×3, first 2 shown]
	v_add_f64 v[114:115], v[34:35], -v[49:50]
	v_fma_f64 v[90:91], v[94:95], s[16:17], v[90:91]
	v_add_f64 v[120:121], v[39:40], -v[45:46]
	v_fma_f64 v[101:102], v[118:119], s[4:5], v[108:109]
	ds_read_b128 v[106:109], v152 offset:624
	ds_read_b128 v[110:113], v152 offset:832
	s_waitcnt lgkmcnt(0)
	s_barrier
	buffer_gl0_inv
	ds_write_b128 v152, v[54:57]
	ds_write_b128 v152, v[78:81] offset:1040
	v_add_f64 v[54:55], v[37:38], -v[39:40]
	v_add_f64 v[56:57], v[47:48], -v[45:46]
	v_fma_f64 v[94:95], v[94:95], s[16:17], v[98:99]
	v_fma_f64 v[92:93], v[96:97], s[16:17], v[92:93]
	v_add_f64 v[118:119], v[37:38], -v[47:48]
	v_fma_f64 v[96:97], v[96:97], s[16:17], v[101:102]
	v_add_f64 v[78:79], v[54:55], v[56:57]
	v_add_f64 v[54:55], v[34:35], -v[41:42]
	v_add_f64 v[56:57], v[49:50], -v[43:44]
	v_add_f64 v[80:81], v[54:55], v[56:57]
	v_add_f64 v[54:55], v[39:40], v[45:46]
	v_fma_f64 v[98:99], v[54:55], -0.5, v[58:59]
	v_add_f64 v[54:55], v[41:42], v[43:44]
	v_fma_f64 v[101:102], v[54:55], -0.5, v[60:61]
	v_fma_f64 v[54:55], v[114:115], s[10:11], v[98:99]
	v_fma_f64 v[98:99], v[114:115], s[14:15], v[98:99]
	;; [unrolled: 1-line block ×10, first 2 shown]
	v_add_f64 v[98:99], v[37:38], v[47:48]
	v_fma_f64 v[56:57], v[80:81], s[16:17], v[56:57]
	v_fma_f64 v[80:81], v[80:81], s[16:17], v[101:102]
	v_add_f64 v[101:102], v[34:35], v[49:50]
	v_fma_f64 v[98:99], v[98:99], -0.5, v[58:59]
	v_add_f64 v[58:59], v[58:59], v[37:38]
	v_fma_f64 v[101:102], v[101:102], -0.5, v[60:61]
	v_add_f64 v[60:61], v[60:61], v[34:35]
	v_add_f64 v[34:35], v[41:42], -v[34:35]
	v_add_f64 v[37:38], v[58:59], v[39:40]
	v_fma_f64 v[58:59], v[120:121], s[14:15], v[101:102]
	v_add_f64 v[39:40], v[60:61], v[41:42]
	v_add_f64 v[41:42], v[45:46], -v[47:48]
	v_add_f64 v[37:38], v[37:38], v[45:46]
	v_fma_f64 v[45:46], v[116:117], s[14:15], v[98:99]
	;; [unrolled: 4-line block ×3, first 2 shown]
	v_add_f64 v[60:61], v[122:123], v[41:42]
	v_fma_f64 v[41:42], v[114:115], s[4:5], v[45:46]
	v_add_f64 v[122:123], v[20:21], -v[30:31]
	v_add_f64 v[39:40], v[39:40], v[49:50]
	v_fma_f64 v[49:50], v[120:121], s[10:11], v[101:102]
	v_add_f64 v[34:35], v[34:35], v[43:44]
	v_fma_f64 v[45:46], v[114:115], s[6:7], v[47:48]
	v_fma_f64 v[47:48], v[118:119], s[4:5], v[58:59]
	v_add_f64 v[58:59], v[32:33], -v[26:27]
	v_fma_f64 v[41:42], v[60:61], s[16:17], v[41:42]
	v_add_f64 v[120:121], v[24:25], -v[26:27]
	;; [unrolled: 2-line block ×3, first 2 shown]
	v_add_f64 v[118:119], v[18:19], -v[32:33]
	v_fma_f64 v[47:48], v[34:35], s[16:17], v[47:48]
	v_fma_f64 v[45:46], v[60:61], s[16:17], v[45:46]
	;; [unrolled: 1-line block ×3, first 2 shown]
	v_add_f64 v[34:35], v[20:21], -v[22:23]
	v_add_f64 v[34:35], v[34:35], v[49:50]
	v_add_f64 v[49:50], v[18:19], -v[24:25]
	v_add_f64 v[49:50], v[49:50], v[58:59]
	v_add_f64 v[58:59], v[22:23], v[28:29]
	v_fma_f64 v[98:99], v[58:59], -0.5, v[106:107]
	v_add_f64 v[58:59], v[24:25], v[26:27]
	v_fma_f64 v[101:102], v[58:59], -0.5, v[108:109]
	v_fma_f64 v[58:59], v[118:119], s[10:11], v[98:99]
	v_fma_f64 v[98:99], v[118:119], s[14:15], v[98:99]
	;; [unrolled: 1-line block ×10, first 2 shown]
	v_add_f64 v[34:35], v[20:21], v[30:31]
	v_add_f64 v[98:99], v[106:107], v[20:21]
	v_fma_f64 v[60:61], v[49:50], s[16:17], v[60:61]
	v_fma_f64 v[116:117], v[49:50], s[16:17], v[101:102]
	v_add_f64 v[101:102], v[108:109], v[18:19]
	v_add_f64 v[49:50], v[18:19], v[32:33]
	v_fma_f64 v[34:35], v[34:35], -0.5, v[106:107]
	v_add_f64 v[106:107], v[22:23], -v[20:21]
	v_add_f64 v[20:21], v[98:99], v[22:23]
	v_add_f64 v[22:23], v[101:102], v[24:25]
	v_fma_f64 v[49:50], v[49:50], -0.5, v[108:109]
	v_add_f64 v[24:25], v[24:25], -v[18:19]
	v_add_f64 v[18:19], v[20:21], v[28:29]
	v_add_f64 v[20:21], v[22:23], v[26:27]
	v_add_f64 v[22:23], v[28:29], -v[30:31]
	v_add_f64 v[26:27], v[26:27], -v[32:33]
	v_fma_f64 v[28:29], v[120:121], s[14:15], v[34:35]
	v_add_f64 v[18:19], v[18:19], v[30:31]
	v_fma_f64 v[30:31], v[120:121], s[10:11], v[34:35]
	v_fma_f64 v[34:35], v[124:125], s[14:15], v[49:50]
	v_add_f64 v[120:121], v[8:9], -v[10:11]
	v_add_f64 v[20:21], v[20:21], v[32:33]
	v_fma_f64 v[32:33], v[124:125], s[10:11], v[49:50]
	v_add_f64 v[98:99], v[24:25], v[26:27]
	v_add_f64 v[49:50], v[106:107], v[22:23]
	v_fma_f64 v[22:23], v[118:119], s[4:5], v[28:29]
	v_fma_f64 v[26:27], v[118:119], s[6:7], v[30:31]
	v_add_f64 v[30:31], v[4:5], -v[6:7]
	v_fma_f64 v[28:29], v[122:123], s[4:5], v[34:35]
	v_add_f64 v[118:119], v[2:3], -v[16:17]
	v_add_f64 v[124:125], v[6:7], -v[12:13]
	v_fma_f64 v[24:25], v[122:123], s[6:7], v[32:33]
	v_add_f64 v[32:33], v[14:15], -v[12:13]
	v_add_f64 v[122:123], v[4:5], -v[14:15]
	v_fma_f64 v[22:23], v[49:50], s[16:17], v[22:23]
	v_fma_f64 v[26:27], v[49:50], s[16:17], v[26:27]
	;; [unrolled: 1-line block ×4, first 2 shown]
	v_add_f64 v[34:35], v[30:31], v[32:33]
	v_add_f64 v[30:31], v[2:3], -v[8:9]
	v_add_f64 v[32:33], v[16:17], -v[10:11]
	v_add_f64 v[49:50], v[30:31], v[32:33]
	v_add_f64 v[30:31], v[6:7], v[12:13]
	v_fma_f64 v[98:99], v[30:31], -0.5, v[110:111]
	v_add_f64 v[30:31], v[8:9], v[10:11]
	v_fma_f64 v[101:102], v[30:31], -0.5, v[112:113]
	v_fma_f64 v[30:31], v[118:119], s[10:11], v[98:99]
	v_fma_f64 v[98:99], v[118:119], s[14:15], v[98:99]
	;; [unrolled: 1-line block ×10, first 2 shown]
	v_add_f64 v[34:35], v[4:5], v[14:15]
	v_add_f64 v[98:99], v[110:111], v[4:5]
	v_fma_f64 v[32:33], v[49:50], s[16:17], v[32:33]
	v_fma_f64 v[108:109], v[49:50], s[16:17], v[101:102]
	v_add_f64 v[101:102], v[112:113], v[2:3]
	v_add_f64 v[49:50], v[2:3], v[16:17]
	v_fma_f64 v[34:35], v[34:35], -0.5, v[110:111]
	v_add_f64 v[110:111], v[6:7], -v[4:5]
	v_add_f64 v[4:5], v[98:99], v[6:7]
	v_add_f64 v[6:7], v[101:102], v[8:9]
	v_fma_f64 v[49:50], v[49:50], -0.5, v[112:113]
	v_add_f64 v[8:9], v[8:9], -v[2:3]
	v_add_f64 v[2:3], v[4:5], v[12:13]
	v_add_f64 v[4:5], v[6:7], v[10:11]
	v_add_f64 v[6:7], v[12:13], -v[14:15]
	v_add_f64 v[10:11], v[10:11], -v[16:17]
	v_fma_f64 v[12:13], v[120:121], s[14:15], v[34:35]
	v_add_f64 v[2:3], v[2:3], v[14:15]
	v_fma_f64 v[14:15], v[120:121], s[10:11], v[34:35]
	v_fma_f64 v[34:35], v[124:125], s[14:15], v[49:50]
	v_add_f64 v[4:5], v[4:5], v[16:17]
	v_fma_f64 v[16:17], v[124:125], s[10:11], v[49:50]
	v_add_f64 v[49:50], v[110:111], v[6:7]
	v_add_f64 v[98:99], v[8:9], v[10:11]
	v_fma_f64 v[6:7], v[118:119], s[4:5], v[12:13]
	v_fma_f64 v[10:11], v[118:119], s[6:7], v[14:15]
	;; [unrolled: 1-line block ×3, first 2 shown]
	v_mov_b32_e32 v14, 4
	v_lshlrev_b32_e32 v35, 2, v153
	v_lshlrev_b32_sdwa v15, v14, v51 dst_sel:DWORD dst_unused:UNUSED_PAD src0_sel:DWORD src1_sel:BYTE_0
	v_add3_u32 v15, 0, v15, v154
	ds_write_b128 v15, v[37:40] offset:2080
	v_fma_f64 v[8:9], v[122:123], s[6:7], v[16:17]
	v_lshlrev_b32_sdwa v16, v14, v52 dst_sel:DWORD dst_unused:UNUSED_PAD src0_sel:DWORD src1_sel:BYTE_0
	v_lshlrev_b32_sdwa v14, v14, v53 dst_sel:DWORD dst_unused:UNUSED_PAD src0_sel:DWORD src1_sel:BYTE_0
	v_fma_f64 v[6:7], v[49:50], s[16:17], v[6:7]
	v_fma_f64 v[10:11], v[49:50], s[16:17], v[10:11]
	;; [unrolled: 1-line block ×3, first 2 shown]
	v_add3_u32 v16, 0, v16, v154
	v_add3_u32 v14, 0, v14, v154
	ds_write_b128 v16, v[18:21] offset:3120
	v_fma_f64 v[8:9], v[98:99], s[16:17], v[8:9]
	ds_write_b128 v14, v[2:5] offset:4160
	ds_write_b128 v152, v[62:65] offset:208
	;; [unrolled: 1-line block ×21, first 2 shown]
	s_waitcnt lgkmcnt(0)
	s_barrier
	buffer_gl0_inv
	s_clause 0x3
	global_load_dwordx4 v[12:15], v[0:1], off offset:832
	global_load_dwordx4 v[8:11], v[0:1], off offset:848
	;; [unrolled: 1-line block ×4, first 2 shown]
	v_lshlrev_b64 v[16:17], 4, v[35:36]
	v_add_co_u32 v37, s0, s8, v16
	v_add_co_ci_u32_e64 v38, s0, s9, v17, s0
	s_clause 0x1
	global_load_dwordx4 v[20:23], v[37:38], off offset:832
	global_load_dwordx4 v[16:19], v[37:38], off offset:848
	ds_read_b128 v[28:31], v152 offset:1040
	ds_read_b128 v[24:27], v152 offset:1248
	;; [unrolled: 1-line block ×4, first 2 shown]
	s_waitcnt vmcnt(5) lgkmcnt(3)
	v_mul_f64 v[39:40], v[30:31], v[14:15]
	v_mul_f64 v[14:15], v[28:29], v[14:15]
	s_waitcnt vmcnt(4) lgkmcnt(1)
	v_mul_f64 v[45:46], v[34:35], v[10:11]
	v_mul_f64 v[47:48], v[32:33], v[10:11]
	v_fma_f64 v[39:40], v[28:29], v[12:13], -v[39:40]
	v_fma_f64 v[49:50], v[30:31], v[12:13], v[14:15]
	ds_read_b128 v[10:13], v152 offset:3120
	ds_read_b128 v[28:31], v152 offset:3328
	v_fma_f64 v[32:33], v[32:33], v[8:9], -v[45:46]
	v_fma_f64 v[45:46], v[34:35], v[8:9], v[47:48]
	s_waitcnt vmcnt(3) lgkmcnt(1)
	v_mul_f64 v[14:15], v[12:13], v[6:7]
	v_mul_f64 v[34:35], v[10:11], v[6:7]
	ds_read_b128 v[6:9], v152 offset:4160
	v_fma_f64 v[47:48], v[10:11], v[4:5], -v[14:15]
	v_fma_f64 v[101:102], v[12:13], v[4:5], v[34:35]
	ds_read_b128 v[10:13], v152 offset:3952
	s_waitcnt vmcnt(2) lgkmcnt(1)
	v_mul_f64 v[4:5], v[8:9], v[2:3]
	v_mul_f64 v[2:3], v[6:7], v[2:3]
	v_lshlrev_b32_e32 v35, 2, v150
	v_fma_f64 v[106:107], v[6:7], v[0:1], -v[4:5]
	s_waitcnt vmcnt(1)
	v_mul_f64 v[4:5], v[26:27], v[22:23]
	v_mul_f64 v[6:7], v[24:25], v[22:23]
	v_fma_f64 v[8:9], v[8:9], v[0:1], v[2:3]
	ds_read_b128 v[0:3], v152 offset:2288
	v_fma_f64 v[108:109], v[24:25], v[20:21], -v[4:5]
	v_fma_f64 v[110:111], v[26:27], v[20:21], v[6:7]
	ds_read_b128 v[4:7], v152 offset:2496
	s_waitcnt vmcnt(0) lgkmcnt(1)
	v_mul_f64 v[14:15], v[2:3], v[18:19]
	v_mul_f64 v[18:19], v[0:1], v[18:19]
	v_fma_f64 v[112:113], v[0:1], v[16:17], -v[14:15]
	v_fma_f64 v[114:115], v[2:3], v[16:17], v[18:19]
	s_clause 0x1
	global_load_dwordx4 v[0:3], v[37:38], off offset:864
	global_load_dwordx4 v[14:17], v[37:38], off offset:880
	s_waitcnt vmcnt(1)
	v_mul_f64 v[18:19], v[30:31], v[2:3]
	v_mul_f64 v[2:3], v[28:29], v[2:3]
	v_fma_f64 v[116:117], v[28:29], v[0:1], -v[18:19]
	v_fma_f64 v[118:119], v[30:31], v[0:1], v[2:3]
	ds_read_b128 v[0:3], v152 offset:4368
	ds_read_b128 v[18:21], v152 offset:4576
	s_waitcnt vmcnt(0) lgkmcnt(1)
	v_mul_f64 v[22:23], v[2:3], v[16:17]
	v_fma_f64 v[120:121], v[0:1], v[14:15], -v[22:23]
	v_mul_f64 v[0:1], v[0:1], v[16:17]
	v_fma_f64 v[122:123], v[2:3], v[14:15], v[0:1]
	v_lshlrev_b64 v[0:1], 4, v[35:36]
	v_add_co_u32 v30, s0, s8, v0
	v_add_co_ci_u32_e64 v31, s0, s9, v1, s0
	s_clause 0x1
	global_load_dwordx4 v[0:3], v[30:31], off offset:832
	global_load_dwordx4 v[14:17], v[30:31], off offset:848
	ds_read_b128 v[22:25], v152 offset:1456
	ds_read_b128 v[26:29], v152 offset:1664
	s_waitcnt vmcnt(1) lgkmcnt(1)
	v_mul_f64 v[34:35], v[24:25], v[2:3]
	v_mul_f64 v[2:3], v[22:23], v[2:3]
	v_fma_f64 v[86:87], v[22:23], v[0:1], -v[34:35]
	v_fma_f64 v[84:85], v[24:25], v[0:1], v[2:3]
	s_waitcnt vmcnt(0)
	v_mul_f64 v[0:1], v[6:7], v[16:17]
	v_lshlrev_b32_e32 v35, 2, v147
	v_fma_f64 v[88:89], v[4:5], v[14:15], -v[0:1]
	v_mul_f64 v[0:1], v[4:5], v[16:17]
	v_fma_f64 v[90:91], v[6:7], v[14:15], v[0:1]
	s_clause 0x1
	global_load_dwordx4 v[0:3], v[30:31], off offset:864
	global_load_dwordx4 v[4:7], v[30:31], off offset:880
	ds_read_b128 v[14:17], v152 offset:3536
	ds_read_b128 v[22:25], v152 offset:3744
	s_waitcnt vmcnt(1) lgkmcnt(1)
	v_mul_f64 v[30:31], v[16:17], v[2:3]
	v_mul_f64 v[2:3], v[14:15], v[2:3]
	v_fma_f64 v[94:95], v[14:15], v[0:1], -v[30:31]
	v_fma_f64 v[92:93], v[16:17], v[0:1], v[2:3]
	s_waitcnt vmcnt(0)
	v_mul_f64 v[0:1], v[20:21], v[6:7]
	v_add_f64 v[30:31], v[39:40], -v[106:107]
	v_fma_f64 v[96:97], v[18:19], v[4:5], -v[0:1]
	v_mul_f64 v[0:1], v[18:19], v[6:7]
	v_fma_f64 v[98:99], v[20:21], v[4:5], v[0:1]
	v_lshlrev_b64 v[0:1], 4, v[35:36]
	v_lshlrev_b32_e32 v35, 2, v146
	v_add_co_u32 v18, s0, s8, v0
	v_add_co_ci_u32_e64 v19, s0, s9, v1, s0
	s_clause 0x1
	global_load_dwordx4 v[0:3], v[18:19], off offset:832
	global_load_dwordx4 v[4:7], v[18:19], off offset:848
	s_waitcnt vmcnt(1)
	v_mul_f64 v[14:15], v[28:29], v[2:3]
	v_mul_f64 v[2:3], v[26:27], v[2:3]
	v_fma_f64 v[70:71], v[26:27], v[0:1], -v[14:15]
	v_fma_f64 v[68:69], v[28:29], v[0:1], v[2:3]
	ds_read_b128 v[0:3], v152 offset:2704
	ds_read_b128 v[14:17], v152 offset:2912
	v_add_f64 v[28:29], v[45:46], -v[101:102]
	s_waitcnt vmcnt(0) lgkmcnt(1)
	v_mul_f64 v[20:21], v[2:3], v[6:7]
	v_fma_f64 v[72:73], v[0:1], v[4:5], -v[20:21]
	v_mul_f64 v[0:1], v[0:1], v[6:7]
	v_fma_f64 v[74:75], v[2:3], v[4:5], v[0:1]
	s_clause 0x1
	global_load_dwordx4 v[0:3], v[18:19], off offset:864
	global_load_dwordx4 v[4:7], v[18:19], off offset:880
	s_waitcnt vmcnt(1)
	v_mul_f64 v[18:19], v[24:25], v[2:3]
	v_mul_f64 v[2:3], v[22:23], v[2:3]
	v_fma_f64 v[78:79], v[22:23], v[0:1], -v[18:19]
	v_fma_f64 v[76:77], v[24:25], v[0:1], v[2:3]
	ds_read_b128 v[0:3], v152 offset:4784
	ds_read_b128 v[18:21], v152 offset:4992
	s_waitcnt vmcnt(0) lgkmcnt(1)
	v_mul_f64 v[22:23], v[2:3], v[6:7]
	v_fma_f64 v[80:81], v[0:1], v[4:5], -v[22:23]
	v_mul_f64 v[0:1], v[0:1], v[6:7]
	v_fma_f64 v[82:83], v[2:3], v[4:5], v[0:1]
	v_lshlrev_b64 v[0:1], 4, v[35:36]
	v_add_f64 v[34:35], v[32:33], -v[47:48]
	v_add_f64 v[36:37], v[32:33], -v[39:40]
	v_add_co_u32 v22, s0, s8, v0
	v_add_co_ci_u32_e64 v23, s0, s9, v1, s0
	s_clause 0x1
	global_load_dwordx4 v[0:3], v[22:23], off offset:832
	global_load_dwordx4 v[4:7], v[22:23], off offset:848
	s_waitcnt vmcnt(1)
	v_mul_f64 v[24:25], v[43:44], v[2:3]
	v_mul_f64 v[2:3], v[41:42], v[2:3]
	v_fma_f64 v[54:55], v[41:42], v[0:1], -v[24:25]
	v_fma_f64 v[52:53], v[43:44], v[0:1], v[2:3]
	s_waitcnt vmcnt(0)
	v_mul_f64 v[0:1], v[16:17], v[6:7]
	v_add_f64 v[42:43], v[110:111], -v[122:123]
	v_fma_f64 v[56:57], v[14:15], v[4:5], -v[0:1]
	v_mul_f64 v[0:1], v[14:15], v[6:7]
	v_fma_f64 v[58:59], v[16:17], v[4:5], v[0:1]
	s_clause 0x1
	global_load_dwordx4 v[0:3], v[22:23], off offset:864
	global_load_dwordx4 v[4:7], v[22:23], off offset:880
	v_add_f64 v[16:17], v[45:46], v[101:102]
	v_add_f64 v[22:23], v[49:50], -v[8:9]
	s_waitcnt vmcnt(1)
	v_mul_f64 v[14:15], v[12:13], v[2:3]
	v_mul_f64 v[2:3], v[10:11], v[2:3]
	v_fma_f64 v[62:63], v[10:11], v[0:1], -v[14:15]
	v_fma_f64 v[60:61], v[12:13], v[0:1], v[2:3]
	s_waitcnt vmcnt(0) lgkmcnt(0)
	v_mul_f64 v[0:1], v[20:21], v[6:7]
	v_add_f64 v[2:3], v[106:107], -v[47:48]
	v_add_f64 v[12:13], v[32:33], v[47:48]
	v_fma_f64 v[64:65], v[18:19], v[4:5], -v[0:1]
	v_mul_f64 v[0:1], v[18:19], v[6:7]
	v_fma_f64 v[66:67], v[20:21], v[4:5], v[0:1]
	v_add_f64 v[0:1], v[39:40], -v[32:33]
	v_add_f64 v[10:11], v[0:1], v[2:3]
	v_add_f64 v[0:1], v[49:50], -v[45:46]
	v_add_f64 v[2:3], v[8:9], -v[101:102]
	v_add_f64 v[14:15], v[0:1], v[2:3]
	ds_read_b128 v[0:3], v151
	ds_read_b128 v[4:7], v152 offset:416
	s_waitcnt lgkmcnt(1)
	v_fma_f64 v[12:13], v[12:13], -0.5, v[0:1]
	v_fma_f64 v[20:21], v[16:17], -0.5, v[2:3]
	v_fma_f64 v[16:17], v[22:23], s[10:11], v[12:13]
	v_fma_f64 v[18:19], v[30:31], s[14:15], v[20:21]
	;; [unrolled: 1-line block ×12, first 2 shown]
	v_add_f64 v[10:11], v[39:40], v[106:107]
	v_add_f64 v[20:21], v[49:50], v[8:9]
	v_fma_f64 v[10:11], v[10:11], -0.5, v[0:1]
	v_fma_f64 v[20:21], v[20:21], -0.5, v[2:3]
	v_add_f64 v[0:1], v[0:1], v[39:40]
	v_add_f64 v[2:3], v[2:3], v[49:50]
	v_add_f64 v[38:39], v[47:48], -v[106:107]
	v_add_f64 v[40:41], v[114:115], -v[118:119]
	v_add_f64 v[0:1], v[0:1], v[32:33]
	v_add_f64 v[2:3], v[2:3], v[45:46]
	v_add_f64 v[32:33], v[45:46], -v[49:50]
	v_add_f64 v[50:51], v[108:109], -v[120:121]
	v_add_f64 v[0:1], v[0:1], v[47:48]
	v_add_f64 v[2:3], v[2:3], v[101:102]
	v_add_f64 v[48:49], v[112:113], -v[116:117]
	v_add_f64 v[24:25], v[0:1], v[106:107]
	v_add_f64 v[26:27], v[2:3], v[8:9]
	v_add_f64 v[0:1], v[101:102], -v[8:9]
	v_fma_f64 v[2:3], v[28:29], s[14:15], v[10:11]
	v_fma_f64 v[8:9], v[28:29], s[10:11], v[10:11]
	;; [unrolled: 1-line block ×4, first 2 shown]
	v_add_f64 v[28:29], v[36:37], v[38:39]
	v_add_f64 v[101:102], v[108:109], -v[112:113]
	v_add_f64 v[106:107], v[110:111], -v[114:115]
	v_add_f64 v[0:1], v[32:33], v[0:1]
	v_fma_f64 v[2:3], v[22:23], s[4:5], v[2:3]
	v_fma_f64 v[8:9], v[22:23], s[6:7], v[8:9]
	;; [unrolled: 1-line block ×5, first 2 shown]
	v_add_f64 v[2:3], v[116:117], -v[120:121]
	v_fma_f64 v[38:39], v[0:1], s[16:17], v[10:11]
	v_fma_f64 v[22:23], v[0:1], s[16:17], v[22:23]
	v_add_f64 v[0:1], v[112:113], -v[108:109]
	v_fma_f64 v[20:21], v[28:29], s[16:17], v[8:9]
	v_add_f64 v[28:29], v[108:109], v[120:121]
	v_add_f64 v[8:9], v[0:1], v[2:3]
	v_add_f64 v[0:1], v[114:115], -v[110:111]
	v_add_f64 v[2:3], v[118:119], -v[122:123]
	v_add_f64 v[10:11], v[0:1], v[2:3]
	ds_read_b128 v[0:3], v100
	s_waitcnt lgkmcnt(0)
	v_fma_f64 v[32:33], v[28:29], -0.5, v[0:1]
	v_add_f64 v[28:29], v[110:111], v[122:123]
	v_fma_f64 v[34:35], v[28:29], -0.5, v[2:3]
	v_fma_f64 v[28:29], v[40:41], s[14:15], v[32:33]
	v_fma_f64 v[32:33], v[40:41], s[10:11], v[32:33]
	;; [unrolled: 1-line block ×10, first 2 shown]
	v_add_f64 v[8:9], v[112:113], v[116:117]
	v_fma_f64 v[30:31], v[10:11], s[16:17], v[30:31]
	v_fma_f64 v[34:35], v[10:11], s[16:17], v[34:35]
	v_add_f64 v[10:11], v[114:115], v[118:119]
	v_fma_f64 v[8:9], v[8:9], -0.5, v[0:1]
	v_add_f64 v[0:1], v[0:1], v[108:109]
	v_add_f64 v[108:109], v[120:121], -v[116:117]
	v_fma_f64 v[10:11], v[10:11], -0.5, v[2:3]
	v_add_f64 v[2:3], v[2:3], v[110:111]
	v_add_f64 v[0:1], v[0:1], v[112:113]
	;; [unrolled: 1-line block ×7, first 2 shown]
	v_add_f64 v[0:1], v[122:123], -v[118:119]
	v_add_f64 v[46:47], v[2:3], v[122:123]
	v_fma_f64 v[2:3], v[42:43], s[10:11], v[8:9]
	v_fma_f64 v[8:9], v[42:43], s[14:15], v[8:9]
	v_fma_f64 v[42:43], v[50:51], s[14:15], v[10:11]
	v_fma_f64 v[10:11], v[50:51], s[10:11], v[10:11]
	v_add_f64 v[0:1], v[106:107], v[0:1]
	v_fma_f64 v[2:3], v[40:41], s[4:5], v[2:3]
	v_fma_f64 v[8:9], v[40:41], s[6:7], v[8:9]
	;; [unrolled: 1-line block ×8, first 2 shown]
	ds_read_b128 v[8:11], v152 offset:624
	ds_read_b128 v[0:3], v152 offset:832
	s_waitcnt lgkmcnt(0)
	s_barrier
	buffer_gl0_inv
	ds_write_b128 v152, v[24:27]
	ds_write_b128 v152, v[16:19] offset:1040
	ds_write_b128 v152, v[36:39] offset:2080
	;; [unrolled: 1-line block ×4, first 2 shown]
	ds_write_b128 v100, v[44:47]
	ds_write_b128 v100, v[48:51] offset:1040
	ds_write_b128 v100, v[28:31] offset:2080
	;; [unrolled: 1-line block ×4, first 2 shown]
	v_add_f64 v[12:13], v[86:87], -v[88:89]
	v_add_f64 v[14:15], v[96:97], -v[94:95]
	;; [unrolled: 1-line block ×15, first 2 shown]
	v_add_f64 v[16:17], v[12:13], v[14:15]
	v_add_f64 v[12:13], v[84:85], -v[90:91]
	v_add_f64 v[14:15], v[98:99], -v[92:93]
	v_add_f64 v[18:19], v[12:13], v[14:15]
	v_add_f64 v[12:13], v[88:89], v[94:95]
	v_fma_f64 v[20:21], v[12:13], -0.5, v[4:5]
	v_add_f64 v[12:13], v[90:91], v[92:93]
	v_fma_f64 v[22:23], v[12:13], -0.5, v[6:7]
	v_fma_f64 v[12:13], v[24:25], s[10:11], v[20:21]
	v_fma_f64 v[20:21], v[24:25], s[14:15], v[20:21]
	v_fma_f64 v[14:15], v[28:29], s[14:15], v[22:23]
	v_fma_f64 v[22:23], v[28:29], s[10:11], v[22:23]
	v_fma_f64 v[12:13], v[26:27], s[4:5], v[12:13]
	v_fma_f64 v[20:21], v[26:27], s[6:7], v[20:21]
	v_fma_f64 v[14:15], v[30:31], s[6:7], v[14:15]
	v_fma_f64 v[22:23], v[30:31], s[4:5], v[22:23]
	v_fma_f64 v[12:13], v[16:17], s[16:17], v[12:13]
	v_fma_f64 v[16:17], v[16:17], s[16:17], v[20:21]
	v_add_f64 v[20:21], v[86:87], v[96:97]
	v_fma_f64 v[14:15], v[18:19], s[16:17], v[14:15]
	v_fma_f64 v[18:19], v[18:19], s[16:17], v[22:23]
	v_add_f64 v[22:23], v[84:85], v[98:99]
	v_fma_f64 v[20:21], v[20:21], -0.5, v[4:5]
	v_add_f64 v[4:5], v[4:5], v[86:87]
	v_fma_f64 v[22:23], v[22:23], -0.5, v[6:7]
	v_add_f64 v[6:7], v[6:7], v[84:85]
	v_fma_f64 v[40:41], v[26:27], s[14:15], v[20:21]
	v_fma_f64 v[20:21], v[26:27], s[10:11], v[20:21]
	v_add_f64 v[4:5], v[4:5], v[88:89]
	v_fma_f64 v[26:27], v[30:31], s[10:11], v[22:23]
	v_fma_f64 v[22:23], v[30:31], s[14:15], v[22:23]
	v_add_f64 v[30:31], v[32:33], v[36:37]
	v_add_f64 v[32:33], v[34:35], v[38:39]
	v_fma_f64 v[34:35], v[24:25], s[4:5], v[40:41]
	v_fma_f64 v[24:25], v[24:25], s[6:7], v[20:21]
	v_add_f64 v[40:41], v[68:69], -v[82:83]
	v_add_f64 v[6:7], v[6:7], v[90:91]
	v_add_f64 v[4:5], v[4:5], v[94:95]
	v_fma_f64 v[26:27], v[28:29], s[6:7], v[26:27]
	v_fma_f64 v[28:29], v[28:29], s[4:5], v[22:23]
	;; [unrolled: 1-line block ×4, first 2 shown]
	v_add_f64 v[30:31], v[80:81], -v[78:79]
	v_add_f64 v[6:7], v[6:7], v[92:93]
	v_add_f64 v[4:5], v[4:5], v[96:97]
	v_fma_f64 v[22:23], v[32:33], s[16:17], v[26:27]
	v_fma_f64 v[26:27], v[32:33], s[16:17], v[28:29]
	v_add_f64 v[28:29], v[70:71], -v[72:73]
	v_add_f64 v[6:7], v[6:7], v[98:99]
	v_add_f64 v[32:33], v[28:29], v[30:31]
	v_add_f64 v[28:29], v[68:69], -v[74:75]
	v_add_f64 v[30:31], v[82:83], -v[76:77]
	v_add_f64 v[34:35], v[28:29], v[30:31]
	v_add_f64 v[28:29], v[72:73], v[78:79]
	v_fma_f64 v[36:37], v[28:29], -0.5, v[8:9]
	v_add_f64 v[28:29], v[74:75], v[76:77]
	v_fma_f64 v[38:39], v[28:29], -0.5, v[10:11]
	v_fma_f64 v[28:29], v[40:41], s[10:11], v[36:37]
	v_fma_f64 v[36:37], v[40:41], s[14:15], v[36:37]
	;; [unrolled: 1-line block ×10, first 2 shown]
	v_add_f64 v[36:37], v[70:71], v[80:81]
	v_fma_f64 v[30:31], v[34:35], s[16:17], v[30:31]
	v_fma_f64 v[34:35], v[34:35], s[16:17], v[38:39]
	v_add_f64 v[38:39], v[68:69], v[82:83]
	v_fma_f64 v[36:37], v[36:37], -0.5, v[8:9]
	v_add_f64 v[8:9], v[8:9], v[70:71]
	v_add_f64 v[70:71], v[76:77], -v[82:83]
	v_fma_f64 v[38:39], v[38:39], -0.5, v[10:11]
	v_add_f64 v[10:11], v[10:11], v[68:69]
	v_add_f64 v[68:69], v[78:79], -v[80:81]
	v_add_f64 v[8:9], v[8:9], v[72:73]
	v_fma_f64 v[72:73], v[42:43], s[14:15], v[36:37]
	v_fma_f64 v[36:37], v[42:43], s[10:11], v[36:37]
	;; [unrolled: 1-line block ×4, first 2 shown]
	v_add_f64 v[46:47], v[48:49], v[68:69]
	v_add_f64 v[48:49], v[50:51], v[70:71]
	v_fma_f64 v[50:51], v[40:41], s[4:5], v[72:73]
	v_fma_f64 v[40:41], v[40:41], s[6:7], v[36:37]
	v_add_f64 v[10:11], v[10:11], v[74:75]
	v_add_f64 v[72:73], v[58:59], -v[60:61]
	v_add_f64 v[74:75], v[52:53], -v[66:67]
	v_add_f64 v[8:9], v[8:9], v[78:79]
	v_add_f64 v[78:79], v[54:55], -v[64:65]
	v_fma_f64 v[42:43], v[44:45], s[6:7], v[42:43]
	v_fma_f64 v[44:45], v[44:45], s[4:5], v[38:39]
	;; [unrolled: 1-line block ×4, first 2 shown]
	v_add_f64 v[46:47], v[62:63], -v[64:65]
	v_add_f64 v[10:11], v[10:11], v[76:77]
	v_add_f64 v[76:77], v[56:57], -v[62:63]
	v_add_f64 v[8:9], v[8:9], v[80:81]
	v_fma_f64 v[38:39], v[48:49], s[16:17], v[42:43]
	v_fma_f64 v[42:43], v[48:49], s[16:17], v[44:45]
	v_add_f64 v[44:45], v[56:57], -v[54:55]
	v_add_f64 v[10:11], v[10:11], v[82:83]
	v_add_f64 v[48:49], v[44:45], v[46:47]
	v_add_f64 v[44:45], v[58:59], -v[52:53]
	v_add_f64 v[46:47], v[60:61], -v[66:67]
	v_add_f64 v[50:51], v[44:45], v[46:47]
	v_add_f64 v[44:45], v[54:55], v[64:65]
	v_fma_f64 v[68:69], v[44:45], -0.5, v[0:1]
	v_add_f64 v[44:45], v[52:53], v[66:67]
	v_fma_f64 v[70:71], v[44:45], -0.5, v[2:3]
	v_fma_f64 v[44:45], v[72:73], s[14:15], v[68:69]
	v_fma_f64 v[68:69], v[72:73], s[10:11], v[68:69]
	;; [unrolled: 1-line block ×10, first 2 shown]
	v_add_f64 v[68:69], v[56:57], v[62:63]
	v_fma_f64 v[46:47], v[50:51], s[16:17], v[46:47]
	v_fma_f64 v[50:51], v[50:51], s[16:17], v[70:71]
	v_add_f64 v[70:71], v[58:59], v[60:61]
	v_fma_f64 v[68:69], v[68:69], -0.5, v[0:1]
	v_add_f64 v[0:1], v[0:1], v[54:55]
	v_add_f64 v[54:55], v[54:55], -v[56:57]
	v_fma_f64 v[70:71], v[70:71], -0.5, v[2:3]
	v_add_f64 v[2:3], v[2:3], v[52:53]
	v_add_f64 v[52:53], v[52:53], -v[58:59]
	v_add_f64 v[0:1], v[0:1], v[56:57]
	v_add_f64 v[56:57], v[64:65], -v[62:63]
	;; [unrolled: 2-line block ×3, first 2 shown]
	v_add_f64 v[0:1], v[0:1], v[62:63]
	v_fma_f64 v[62:63], v[74:75], s[14:15], v[68:69]
	v_add_f64 v[56:57], v[54:55], v[56:57]
	v_add_f64 v[2:3], v[2:3], v[60:61]
	v_fma_f64 v[60:61], v[74:75], s[10:11], v[68:69]
	v_add_f64 v[0:1], v[0:1], v[64:65]
	v_fma_f64 v[64:65], v[78:79], s[14:15], v[70:71]
	v_add_f64 v[58:59], v[52:53], v[58:59]
	v_add_f64 v[2:3], v[2:3], v[66:67]
	v_fma_f64 v[66:67], v[78:79], s[10:11], v[70:71]
	v_fma_f64 v[52:53], v[72:73], s[4:5], v[60:61]
	;; [unrolled: 1-line block ×9, first 2 shown]
	ds_write_b128 v152, v[4:7] offset:416
	ds_write_b128 v152, v[12:15] offset:1456
	;; [unrolled: 1-line block ×15, first 2 shown]
	s_waitcnt lgkmcnt(0)
	s_barrier
	buffer_gl0_inv
	s_and_saveexec_b32 s0, vcc_lo
	s_cbranch_execz .LBB0_17
; %bb.16:
	v_mad_u64_u32 v[8:9], null, s2, v149, 0
	v_mad_u64_u32 v[10:11], null, s2, v148, 0
	;; [unrolled: 1-line block ×4, first 2 shown]
	v_mov_b32_e32 v0, v9
	v_add_co_u32 v30, vcc_lo, s12, v104
	v_mov_b32_e32 v1, v11
	v_add_co_ci_u32_e32 v31, vcc_lo, s13, v105, vcc_lo
	v_mad_u64_u32 v[21:22], null, s2, v144, 0
	v_mad_u64_u32 v[2:3], null, s3, v149, v[0:1]
	;; [unrolled: 1-line block ×3, first 2 shown]
	v_mov_b32_e32 v9, v2
	ds_read_b128 v[0:3], v151
	ds_read_b128 v[4:7], v151 offset:208
	v_lshlrev_b64 v[8:9], 4, v[8:9]
	v_mov_b32_e32 v11, v16
	v_mad_u64_u32 v[16:17], null, s3, v150, v[13:14]
	v_mad_u64_u32 v[17:18], null, s2, v146, 0
	v_lshlrev_b64 v[10:11], 4, v[10:11]
	v_add_co_u32 v8, vcc_lo, v30, v8
	v_add_co_ci_u32_e32 v9, vcc_lo, v31, v9, vcc_lo
	v_mad_u64_u32 v[19:20], null, s3, v147, v[15:16]
	v_add_co_u32 v10, vcc_lo, v30, v10
	v_add_co_ci_u32_e32 v11, vcc_lo, v31, v11, vcc_lo
	v_mov_b32_e32 v13, v16
	s_waitcnt lgkmcnt(1)
	global_store_dwordx4 v[8:9], v[0:3], off
	s_waitcnt lgkmcnt(0)
	global_store_dwordx4 v[10:11], v[4:7], off
	v_mov_b32_e32 v10, v18
	v_mov_b32_e32 v15, v19
	v_lshlrev_b64 v[8:9], 4, v[12:13]
	ds_read_b128 v[0:3], v151 offset:416
	ds_read_b128 v[4:7], v151 offset:624
	v_mad_u64_u32 v[12:13], null, s2, v145, 0
	v_mad_u64_u32 v[10:11], null, s3, v146, v[10:11]
	v_lshlrev_b64 v[14:15], 4, v[14:15]
	v_add_co_u32 v19, vcc_lo, v30, v8
	v_add_co_ci_u32_e32 v20, vcc_lo, v31, v9, vcc_lo
	v_mov_b32_e32 v18, v10
	ds_read_b128 v[8:11], v151 offset:832
	v_add_co_u32 v14, vcc_lo, v30, v14
	v_add_co_ci_u32_e32 v15, vcc_lo, v31, v15, vcc_lo
	v_lshlrev_b64 v[16:17], 4, v[17:18]
	v_mad_u64_u32 v[23:24], null, s3, v145, v[13:14]
	s_waitcnt lgkmcnt(2)
	global_store_dwordx4 v[19:20], v[0:3], off
	s_waitcnt lgkmcnt(1)
	global_store_dwordx4 v[14:15], v[4:7], off
	v_mad_u64_u32 v[14:15], null, s2, v142, 0
	v_add_co_u32 v4, vcc_lo, v30, v16
	v_mov_b32_e32 v0, v22
	v_add_co_ci_u32_e32 v5, vcc_lo, v31, v17, vcc_lo
	v_mov_b32_e32 v13, v23
	v_mad_u64_u32 v[6:7], null, s3, v144, v[0:1]
	s_waitcnt lgkmcnt(0)
	global_store_dwordx4 v[4:5], v[8:11], off
	v_lshlrev_b64 v[8:9], 4, v[12:13]
	v_mov_b32_e32 v12, v15
	ds_read_b128 v[0:3], v151 offset:1040
	v_mad_u64_u32 v[10:11], null, s2, v143, 0
	v_mov_b32_e32 v22, v6
	ds_read_b128 v[4:7], v151 offset:1248
	v_mad_u64_u32 v[12:13], null, s3, v142, v[12:13]
	v_add_co_u32 v8, vcc_lo, v30, v8
	v_lshlrev_b64 v[15:16], 4, v[21:22]
	v_add_co_ci_u32_e32 v9, vcc_lo, v31, v9, vcc_lo
	v_mad_u64_u32 v[17:18], null, s3, v143, v[11:12]
	v_mad_u64_u32 v[18:19], null, s2, v141, 0
	v_add_co_u32 v20, vcc_lo, v30, v15
	v_add_co_ci_u32_e32 v21, vcc_lo, v31, v16, vcc_lo
	v_mov_b32_e32 v15, v12
	s_waitcnt lgkmcnt(1)
	global_store_dwordx4 v[8:9], v[0:3], off
	v_mov_b32_e32 v8, v19
	s_waitcnt lgkmcnt(0)
	global_store_dwordx4 v[20:21], v[4:7], off
	v_mov_b32_e32 v11, v17
	v_lshlrev_b64 v[4:5], 4, v[14:15]
	v_mad_u64_u32 v[12:13], null, s2, v139, 0
	v_mad_u64_u32 v[6:7], null, s3, v141, v[8:9]
	ds_read_b128 v[0:3], v151 offset:1456
	v_add_co_u32 v14, vcc_lo, v30, v4
	v_add_co_ci_u32_e32 v15, vcc_lo, v31, v5, vcc_lo
	v_lshlrev_b64 v[16:17], 4, v[10:11]
	v_mov_b32_e32 v19, v6
	ds_read_b128 v[4:7], v151 offset:1664
	ds_read_b128 v[8:11], v151 offset:1872
	v_mad_u64_u32 v[20:21], null, s2, v140, 0
	v_mad_u64_u32 v[22:23], null, s3, v139, v[13:14]
	v_lshlrev_b64 v[18:19], 4, v[18:19]
	v_add_co_u32 v16, vcc_lo, v30, v16
	v_add_co_ci_u32_e32 v17, vcc_lo, v31, v17, vcc_lo
	s_waitcnt lgkmcnt(2)
	global_store_dwordx4 v[14:15], v[0:3], off
	s_waitcnt lgkmcnt(1)
	global_store_dwordx4 v[16:17], v[4:7], off
	v_mad_u64_u32 v[23:24], null, s3, v140, v[21:22]
	v_mad_u64_u32 v[24:25], null, s2, v138, 0
	v_mov_b32_e32 v13, v22
	v_add_co_u32 v18, vcc_lo, v30, v18
	v_add_co_ci_u32_e32 v19, vcc_lo, v31, v19, vcc_lo
	v_lshlrev_b64 v[1:2], 4, v[12:13]
	v_mov_b32_e32 v0, v25
	v_mad_u64_u32 v[12:13], null, s2, v137, 0
	s_waitcnt lgkmcnt(0)
	global_store_dwordx4 v[18:19], v[8:11], off
	v_mad_u64_u32 v[18:19], null, s2, v135, 0
	v_mad_u64_u32 v[8:9], null, s3, v138, v[0:1]
	v_add_co_u32 v14, vcc_lo, v30, v1
	v_add_co_ci_u32_e32 v15, vcc_lo, v31, v2, vcc_lo
	ds_read_b128 v[0:3], v151 offset:2080
	ds_read_b128 v[4:7], v151 offset:2288
	v_mov_b32_e32 v21, v23
	v_mov_b32_e32 v25, v8
	ds_read_b128 v[8:11], v151 offset:2496
	v_lshlrev_b64 v[16:17], 4, v[20:21]
	v_lshlrev_b64 v[22:23], 4, v[24:25]
	v_mad_u64_u32 v[24:25], null, s3, v137, v[13:14]
	v_mov_b32_e32 v13, v19
	v_mad_u64_u32 v[20:21], null, s2, v136, 0
	v_add_co_u32 v16, vcc_lo, v30, v16
	v_mad_u64_u32 v[25:26], null, s3, v135, v[13:14]
	v_mov_b32_e32 v13, v24
	v_add_co_ci_u32_e32 v17, vcc_lo, v31, v17, vcc_lo
	v_mov_b32_e32 v19, v21
	v_add_co_u32 v21, vcc_lo, v30, v22
	s_waitcnt lgkmcnt(2)
	global_store_dwordx4 v[14:15], v[0:3], off
	s_waitcnt lgkmcnt(1)
	global_store_dwordx4 v[16:17], v[4:7], off
	v_lshlrev_b64 v[4:5], 4, v[12:13]
	v_add_co_ci_u32_e32 v22, vcc_lo, v31, v23, vcc_lo
	v_mad_u64_u32 v[26:27], null, s3, v136, v[19:20]
	ds_read_b128 v[0:3], v151 offset:2704
	v_add_co_u32 v14, vcc_lo, v30, v4
	s_waitcnt lgkmcnt(1)
	global_store_dwordx4 v[21:22], v[8:11], off
	v_add_co_ci_u32_e32 v15, vcc_lo, v31, v5, vcc_lo
	ds_read_b128 v[4:7], v151 offset:2912
	ds_read_b128 v[8:11], v151 offset:3120
	v_mov_b32_e32 v19, v25
	v_mad_u64_u32 v[12:13], null, s2, v134, 0
	v_mov_b32_e32 v21, v26
	v_lshlrev_b64 v[16:17], 4, v[18:19]
	v_lshlrev_b64 v[18:19], 4, v[20:21]
	v_mad_u64_u32 v[20:21], null, s2, v133, 0
	v_mad_u64_u32 v[22:23], null, s3, v134, v[13:14]
	v_add_co_u32 v16, vcc_lo, v30, v16
	v_add_co_ci_u32_e32 v17, vcc_lo, v31, v17, vcc_lo
	v_mad_u64_u32 v[23:24], null, s2, v132, 0
	v_add_co_u32 v18, vcc_lo, v30, v18
	v_add_co_ci_u32_e32 v19, vcc_lo, v31, v19, vcc_lo
	v_mov_b32_e32 v13, v22
	v_mad_u64_u32 v[21:22], null, s3, v133, v[21:22]
	s_waitcnt lgkmcnt(2)
	global_store_dwordx4 v[14:15], v[0:3], off
	s_waitcnt lgkmcnt(1)
	global_store_dwordx4 v[16:17], v[4:7], off
	;; [unrolled: 2-line block ×3, first 2 shown]
	v_mad_u64_u32 v[16:17], null, s2, v131, 0
	v_mov_b32_e32 v2, v24
	v_lshlrev_b64 v[0:1], 4, v[12:13]
	v_lshlrev_b64 v[10:11], 4, v[20:21]
	v_mad_u64_u32 v[8:9], null, s3, v132, v[2:3]
	v_mov_b32_e32 v9, v17
	v_add_co_u32 v18, vcc_lo, v30, v0
	v_add_co_ci_u32_e32 v19, vcc_lo, v31, v1, vcc_lo
	v_mad_u64_u32 v[20:21], null, s3, v131, v[9:10]
	v_mad_u64_u32 v[21:22], null, s2, v130, 0
	ds_read_b128 v[0:3], v151 offset:3328
	ds_read_b128 v[4:7], v151 offset:3536
	v_add_co_u32 v25, vcc_lo, v30, v10
	v_mov_b32_e32 v24, v8
	v_mov_b32_e32 v17, v20
	v_add_co_ci_u32_e32 v26, vcc_lo, v31, v11, vcc_lo
	v_mov_b32_e32 v20, v22
	ds_read_b128 v[8:11], v151 offset:3744
	ds_read_b128 v[12:15], v151 offset:3952
	v_lshlrev_b64 v[23:24], 4, v[23:24]
	v_lshlrev_b64 v[16:17], 4, v[16:17]
	v_mad_u64_u32 v[27:28], null, s3, v130, v[20:21]
	v_mad_u64_u32 v[28:29], null, s2, v129, 0
	v_add_co_u32 v23, vcc_lo, v30, v23
	v_add_co_ci_u32_e32 v24, vcc_lo, v31, v24, vcc_lo
	v_mov_b32_e32 v22, v27
	s_waitcnt lgkmcnt(3)
	global_store_dwordx4 v[18:19], v[0:3], off
	v_add_co_u32 v16, vcc_lo, v30, v16
	v_mov_b32_e32 v0, v29
	v_lshlrev_b64 v[1:2], 4, v[21:22]
	v_add_co_ci_u32_e32 v17, vcc_lo, v31, v17, vcc_lo
	s_waitcnt lgkmcnt(2)
	global_store_dwordx4 v[25:26], v[4:7], off
	s_waitcnt lgkmcnt(1)
	global_store_dwordx4 v[23:24], v[8:11], off
	;; [unrolled: 2-line block ×3, first 2 shown]
	v_mad_u64_u32 v[8:9], null, s2, v128, 0
	v_mad_u64_u32 v[3:4], null, s3, v129, v[0:1]
	;; [unrolled: 1-line block ×4, first 2 shown]
	v_mov_b32_e32 v0, v9
	v_add_co_u32 v22, vcc_lo, v30, v1
	v_mov_b32_e32 v29, v3
	v_add_co_ci_u32_e32 v23, vcc_lo, v31, v2, vcc_lo
	v_mad_u64_u32 v[9:10], null, s3, v128, v[0:1]
	v_lshlrev_b64 v[11:12], 4, v[28:29]
	v_mov_b32_e32 v10, v21
	v_mov_b32_e32 v13, v25
	ds_read_b128 v[0:3], v151 offset:4160
	ds_read_b128 v[4:7], v151 offset:4368
	v_mad_u64_u32 v[14:15], null, s3, v127, v[10:11]
	v_lshlrev_b64 v[28:29], 4, v[8:9]
	v_mad_u64_u32 v[25:26], null, s3, v126, v[13:14]
	v_add_co_u32 v26, vcc_lo, v30, v11
	v_add_co_ci_u32_e32 v27, vcc_lo, v31, v12, vcc_lo
	v_mov_b32_e32 v21, v14
	ds_read_b128 v[8:11], v151 offset:4576
	ds_read_b128 v[12:15], v151 offset:4784
	;; [unrolled: 1-line block ×3, first 2 shown]
	v_add_co_u32 v28, vcc_lo, v30, v28
	v_lshlrev_b64 v[24:25], 4, v[24:25]
	v_lshlrev_b64 v[20:21], 4, v[20:21]
	v_add_co_ci_u32_e32 v29, vcc_lo, v31, v29, vcc_lo
	v_add_co_u32 v20, vcc_lo, v30, v20
	v_add_co_ci_u32_e32 v21, vcc_lo, v31, v21, vcc_lo
	v_add_co_u32 v24, vcc_lo, v30, v24
	v_add_co_ci_u32_e32 v25, vcc_lo, v31, v25, vcc_lo
	s_waitcnt lgkmcnt(4)
	global_store_dwordx4 v[22:23], v[0:3], off
	s_waitcnt lgkmcnt(3)
	global_store_dwordx4 v[26:27], v[4:7], off
	;; [unrolled: 2-line block ×5, first 2 shown]
.LBB0_17:
	s_endpgm
	.section	.rodata,"a",@progbits
	.p2align	6, 0x0
	.amdhsa_kernel fft_rtc_fwd_len325_factors_13_5_5_wgs_52_tpt_13_dp_ip_CI_sbrr_dirReg
		.amdhsa_group_segment_fixed_size 0
		.amdhsa_private_segment_fixed_size 0
		.amdhsa_kernarg_size 88
		.amdhsa_user_sgpr_count 6
		.amdhsa_user_sgpr_private_segment_buffer 1
		.amdhsa_user_sgpr_dispatch_ptr 0
		.amdhsa_user_sgpr_queue_ptr 0
		.amdhsa_user_sgpr_kernarg_segment_ptr 1
		.amdhsa_user_sgpr_dispatch_id 0
		.amdhsa_user_sgpr_flat_scratch_init 0
		.amdhsa_user_sgpr_private_segment_size 0
		.amdhsa_wavefront_size32 1
		.amdhsa_uses_dynamic_stack 0
		.amdhsa_system_sgpr_private_segment_wavefront_offset 0
		.amdhsa_system_sgpr_workgroup_id_x 1
		.amdhsa_system_sgpr_workgroup_id_y 0
		.amdhsa_system_sgpr_workgroup_id_z 0
		.amdhsa_system_sgpr_workgroup_info 0
		.amdhsa_system_vgpr_workitem_id 0
		.amdhsa_next_free_vgpr 227
		.amdhsa_next_free_sgpr 46
		.amdhsa_reserve_vcc 1
		.amdhsa_reserve_flat_scratch 0
		.amdhsa_float_round_mode_32 0
		.amdhsa_float_round_mode_16_64 0
		.amdhsa_float_denorm_mode_32 3
		.amdhsa_float_denorm_mode_16_64 3
		.amdhsa_dx10_clamp 1
		.amdhsa_ieee_mode 1
		.amdhsa_fp16_overflow 0
		.amdhsa_workgroup_processor_mode 1
		.amdhsa_memory_ordered 1
		.amdhsa_forward_progress 0
		.amdhsa_shared_vgpr_count 0
		.amdhsa_exception_fp_ieee_invalid_op 0
		.amdhsa_exception_fp_denorm_src 0
		.amdhsa_exception_fp_ieee_div_zero 0
		.amdhsa_exception_fp_ieee_overflow 0
		.amdhsa_exception_fp_ieee_underflow 0
		.amdhsa_exception_fp_ieee_inexact 0
		.amdhsa_exception_int_div_zero 0
	.end_amdhsa_kernel
	.text
.Lfunc_end0:
	.size	fft_rtc_fwd_len325_factors_13_5_5_wgs_52_tpt_13_dp_ip_CI_sbrr_dirReg, .Lfunc_end0-fft_rtc_fwd_len325_factors_13_5_5_wgs_52_tpt_13_dp_ip_CI_sbrr_dirReg
                                        ; -- End function
	.section	.AMDGPU.csdata,"",@progbits
; Kernel info:
; codeLenInByte = 19600
; NumSgprs: 48
; NumVgprs: 227
; ScratchSize: 0
; MemoryBound: 0
; FloatMode: 240
; IeeeMode: 1
; LDSByteSize: 0 bytes/workgroup (compile time only)
; SGPRBlocks: 5
; VGPRBlocks: 28
; NumSGPRsForWavesPerEU: 48
; NumVGPRsForWavesPerEU: 227
; Occupancy: 4
; WaveLimiterHint : 1
; COMPUTE_PGM_RSRC2:SCRATCH_EN: 0
; COMPUTE_PGM_RSRC2:USER_SGPR: 6
; COMPUTE_PGM_RSRC2:TRAP_HANDLER: 0
; COMPUTE_PGM_RSRC2:TGID_X_EN: 1
; COMPUTE_PGM_RSRC2:TGID_Y_EN: 0
; COMPUTE_PGM_RSRC2:TGID_Z_EN: 0
; COMPUTE_PGM_RSRC2:TIDIG_COMP_CNT: 0
	.text
	.p2alignl 6, 3214868480
	.fill 48, 4, 3214868480
	.type	__hip_cuid_fe0167825e5eff7b,@object ; @__hip_cuid_fe0167825e5eff7b
	.section	.bss,"aw",@nobits
	.globl	__hip_cuid_fe0167825e5eff7b
__hip_cuid_fe0167825e5eff7b:
	.byte	0                               ; 0x0
	.size	__hip_cuid_fe0167825e5eff7b, 1

	.ident	"AMD clang version 19.0.0git (https://github.com/RadeonOpenCompute/llvm-project roc-6.4.0 25133 c7fe45cf4b819c5991fe208aaa96edf142730f1d)"
	.section	".note.GNU-stack","",@progbits
	.addrsig
	.addrsig_sym __hip_cuid_fe0167825e5eff7b
	.amdgpu_metadata
---
amdhsa.kernels:
  - .args:
      - .actual_access:  read_only
        .address_space:  global
        .offset:         0
        .size:           8
        .value_kind:     global_buffer
      - .offset:         8
        .size:           8
        .value_kind:     by_value
      - .actual_access:  read_only
        .address_space:  global
        .offset:         16
        .size:           8
        .value_kind:     global_buffer
      - .actual_access:  read_only
        .address_space:  global
        .offset:         24
        .size:           8
        .value_kind:     global_buffer
      - .offset:         32
        .size:           8
        .value_kind:     by_value
      - .actual_access:  read_only
        .address_space:  global
        .offset:         40
        .size:           8
        .value_kind:     global_buffer
      - .actual_access:  read_only
        .address_space:  global
        .offset:         48
        .size:           8
        .value_kind:     global_buffer
      - .offset:         56
        .size:           4
        .value_kind:     by_value
      - .actual_access:  read_only
        .address_space:  global
        .offset:         64
        .size:           8
        .value_kind:     global_buffer
      - .actual_access:  read_only
        .address_space:  global
        .offset:         72
        .size:           8
        .value_kind:     global_buffer
      - .address_space:  global
        .offset:         80
        .size:           8
        .value_kind:     global_buffer
    .group_segment_fixed_size: 0
    .kernarg_segment_align: 8
    .kernarg_segment_size: 88
    .language:       OpenCL C
    .language_version:
      - 2
      - 0
    .max_flat_workgroup_size: 52
    .name:           fft_rtc_fwd_len325_factors_13_5_5_wgs_52_tpt_13_dp_ip_CI_sbrr_dirReg
    .private_segment_fixed_size: 0
    .sgpr_count:     48
    .sgpr_spill_count: 0
    .symbol:         fft_rtc_fwd_len325_factors_13_5_5_wgs_52_tpt_13_dp_ip_CI_sbrr_dirReg.kd
    .uniform_work_group_size: 1
    .uses_dynamic_stack: false
    .vgpr_count:     227
    .vgpr_spill_count: 0
    .wavefront_size: 32
    .workgroup_processor_mode: 1
amdhsa.target:   amdgcn-amd-amdhsa--gfx1030
amdhsa.version:
  - 1
  - 2
...

	.end_amdgpu_metadata
